;; amdgpu-corpus repo=ROCm/rocFFT kind=compiled arch=gfx1100 opt=O3
	.text
	.amdgcn_target "amdgcn-amd-amdhsa--gfx1100"
	.amdhsa_code_object_version 6
	.protected	fft_rtc_back_len924_factors_2_2_3_7_11_wgs_44_tpt_44_halfLds_sp_ip_CI_unitstride_sbrr_dirReg ; -- Begin function fft_rtc_back_len924_factors_2_2_3_7_11_wgs_44_tpt_44_halfLds_sp_ip_CI_unitstride_sbrr_dirReg
	.globl	fft_rtc_back_len924_factors_2_2_3_7_11_wgs_44_tpt_44_halfLds_sp_ip_CI_unitstride_sbrr_dirReg
	.p2align	8
	.type	fft_rtc_back_len924_factors_2_2_3_7_11_wgs_44_tpt_44_halfLds_sp_ip_CI_unitstride_sbrr_dirReg,@function
fft_rtc_back_len924_factors_2_2_3_7_11_wgs_44_tpt_44_halfLds_sp_ip_CI_unitstride_sbrr_dirReg: ; @fft_rtc_back_len924_factors_2_2_3_7_11_wgs_44_tpt_44_halfLds_sp_ip_CI_unitstride_sbrr_dirReg
; %bb.0:
	s_clause 0x2
	s_load_b128 s[4:7], s[0:1], 0x0
	s_load_b64 s[8:9], s[0:1], 0x50
	s_load_b64 s[10:11], s[0:1], 0x18
	v_mul_u32_u24_e32 v1, 0x5d2, v0
	v_mov_b32_e32 v3, 0
	v_mov_b32_e32 v4, 0
	s_delay_alu instid0(VALU_DEP_3) | instskip(SKIP_1) | instid1(VALU_DEP_1)
	v_lshrrev_b32_e32 v2, 16, v1
	v_mov_b32_e32 v1, 0
	v_dual_mov_b32 v6, v1 :: v_dual_add_nc_u32 v5, s15, v2
	s_waitcnt lgkmcnt(0)
	v_cmp_lt_u64_e64 s2, s[6:7], 2
	s_delay_alu instid0(VALU_DEP_1)
	s_and_b32 vcc_lo, exec_lo, s2
	s_cbranch_vccnz .LBB0_8
; %bb.1:
	s_load_b64 s[2:3], s[0:1], 0x10
	v_mov_b32_e32 v3, 0
	s_add_u32 s12, s10, 8
	v_mov_b32_e32 v4, 0
	s_addc_u32 s13, s11, 0
	s_mov_b64 s[16:17], 1
	s_waitcnt lgkmcnt(0)
	s_add_u32 s14, s2, 8
	s_addc_u32 s15, s3, 0
.LBB0_2:                                ; =>This Inner Loop Header: Depth=1
	s_load_b64 s[18:19], s[14:15], 0x0
                                        ; implicit-def: $vgpr7_vgpr8
	s_mov_b32 s2, exec_lo
	s_waitcnt lgkmcnt(0)
	v_or_b32_e32 v2, s19, v6
	s_delay_alu instid0(VALU_DEP_1)
	v_cmpx_ne_u64_e32 0, v[1:2]
	s_xor_b32 s3, exec_lo, s2
	s_cbranch_execz .LBB0_4
; %bb.3:                                ;   in Loop: Header=BB0_2 Depth=1
	v_cvt_f32_u32_e32 v2, s18
	v_cvt_f32_u32_e32 v7, s19
	s_sub_u32 s2, 0, s18
	s_subb_u32 s20, 0, s19
	s_delay_alu instid0(VALU_DEP_1) | instskip(NEXT) | instid1(VALU_DEP_1)
	v_fmac_f32_e32 v2, 0x4f800000, v7
	v_rcp_f32_e32 v2, v2
	s_waitcnt_depctr 0xfff
	v_mul_f32_e32 v2, 0x5f7ffffc, v2
	s_delay_alu instid0(VALU_DEP_1) | instskip(NEXT) | instid1(VALU_DEP_1)
	v_mul_f32_e32 v7, 0x2f800000, v2
	v_trunc_f32_e32 v7, v7
	s_delay_alu instid0(VALU_DEP_1) | instskip(SKIP_1) | instid1(VALU_DEP_2)
	v_fmac_f32_e32 v2, 0xcf800000, v7
	v_cvt_u32_f32_e32 v7, v7
	v_cvt_u32_f32_e32 v2, v2
	s_delay_alu instid0(VALU_DEP_2) | instskip(NEXT) | instid1(VALU_DEP_2)
	v_mul_lo_u32 v8, s2, v7
	v_mul_hi_u32 v9, s2, v2
	v_mul_lo_u32 v10, s20, v2
	s_delay_alu instid0(VALU_DEP_2) | instskip(SKIP_1) | instid1(VALU_DEP_2)
	v_add_nc_u32_e32 v8, v9, v8
	v_mul_lo_u32 v9, s2, v2
	v_add_nc_u32_e32 v8, v8, v10
	s_delay_alu instid0(VALU_DEP_2) | instskip(NEXT) | instid1(VALU_DEP_2)
	v_mul_hi_u32 v10, v2, v9
	v_mul_lo_u32 v11, v2, v8
	v_mul_hi_u32 v12, v2, v8
	v_mul_hi_u32 v13, v7, v9
	v_mul_lo_u32 v9, v7, v9
	v_mul_hi_u32 v14, v7, v8
	v_mul_lo_u32 v8, v7, v8
	v_add_co_u32 v10, vcc_lo, v10, v11
	v_add_co_ci_u32_e32 v11, vcc_lo, 0, v12, vcc_lo
	s_delay_alu instid0(VALU_DEP_2) | instskip(NEXT) | instid1(VALU_DEP_2)
	v_add_co_u32 v9, vcc_lo, v10, v9
	v_add_co_ci_u32_e32 v9, vcc_lo, v11, v13, vcc_lo
	v_add_co_ci_u32_e32 v10, vcc_lo, 0, v14, vcc_lo
	s_delay_alu instid0(VALU_DEP_2) | instskip(NEXT) | instid1(VALU_DEP_2)
	v_add_co_u32 v8, vcc_lo, v9, v8
	v_add_co_ci_u32_e32 v9, vcc_lo, 0, v10, vcc_lo
	s_delay_alu instid0(VALU_DEP_2) | instskip(NEXT) | instid1(VALU_DEP_2)
	v_add_co_u32 v2, vcc_lo, v2, v8
	v_add_co_ci_u32_e32 v7, vcc_lo, v7, v9, vcc_lo
	s_delay_alu instid0(VALU_DEP_2) | instskip(SKIP_1) | instid1(VALU_DEP_3)
	v_mul_hi_u32 v8, s2, v2
	v_mul_lo_u32 v10, s20, v2
	v_mul_lo_u32 v9, s2, v7
	s_delay_alu instid0(VALU_DEP_1) | instskip(SKIP_1) | instid1(VALU_DEP_2)
	v_add_nc_u32_e32 v8, v8, v9
	v_mul_lo_u32 v9, s2, v2
	v_add_nc_u32_e32 v8, v8, v10
	s_delay_alu instid0(VALU_DEP_2) | instskip(NEXT) | instid1(VALU_DEP_2)
	v_mul_hi_u32 v10, v2, v9
	v_mul_lo_u32 v11, v2, v8
	v_mul_hi_u32 v12, v2, v8
	v_mul_hi_u32 v13, v7, v9
	v_mul_lo_u32 v9, v7, v9
	v_mul_hi_u32 v14, v7, v8
	v_mul_lo_u32 v8, v7, v8
	v_add_co_u32 v10, vcc_lo, v10, v11
	v_add_co_ci_u32_e32 v11, vcc_lo, 0, v12, vcc_lo
	s_delay_alu instid0(VALU_DEP_2) | instskip(NEXT) | instid1(VALU_DEP_2)
	v_add_co_u32 v9, vcc_lo, v10, v9
	v_add_co_ci_u32_e32 v9, vcc_lo, v11, v13, vcc_lo
	v_add_co_ci_u32_e32 v10, vcc_lo, 0, v14, vcc_lo
	s_delay_alu instid0(VALU_DEP_2) | instskip(NEXT) | instid1(VALU_DEP_2)
	v_add_co_u32 v8, vcc_lo, v9, v8
	v_add_co_ci_u32_e32 v9, vcc_lo, 0, v10, vcc_lo
	s_delay_alu instid0(VALU_DEP_2) | instskip(NEXT) | instid1(VALU_DEP_2)
	v_add_co_u32 v2, vcc_lo, v2, v8
	v_add_co_ci_u32_e32 v13, vcc_lo, v7, v9, vcc_lo
	s_delay_alu instid0(VALU_DEP_2) | instskip(SKIP_1) | instid1(VALU_DEP_3)
	v_mul_hi_u32 v14, v5, v2
	v_mad_u64_u32 v[9:10], null, v6, v2, 0
	v_mad_u64_u32 v[7:8], null, v5, v13, 0
	;; [unrolled: 1-line block ×3, first 2 shown]
	s_delay_alu instid0(VALU_DEP_2) | instskip(NEXT) | instid1(VALU_DEP_3)
	v_add_co_u32 v2, vcc_lo, v14, v7
	v_add_co_ci_u32_e32 v7, vcc_lo, 0, v8, vcc_lo
	s_delay_alu instid0(VALU_DEP_2) | instskip(NEXT) | instid1(VALU_DEP_2)
	v_add_co_u32 v2, vcc_lo, v2, v9
	v_add_co_ci_u32_e32 v2, vcc_lo, v7, v10, vcc_lo
	v_add_co_ci_u32_e32 v7, vcc_lo, 0, v12, vcc_lo
	s_delay_alu instid0(VALU_DEP_2) | instskip(NEXT) | instid1(VALU_DEP_2)
	v_add_co_u32 v2, vcc_lo, v2, v11
	v_add_co_ci_u32_e32 v9, vcc_lo, 0, v7, vcc_lo
	s_delay_alu instid0(VALU_DEP_2) | instskip(SKIP_1) | instid1(VALU_DEP_3)
	v_mul_lo_u32 v10, s19, v2
	v_mad_u64_u32 v[7:8], null, s18, v2, 0
	v_mul_lo_u32 v11, s18, v9
	s_delay_alu instid0(VALU_DEP_2) | instskip(NEXT) | instid1(VALU_DEP_2)
	v_sub_co_u32 v7, vcc_lo, v5, v7
	v_add3_u32 v8, v8, v11, v10
	s_delay_alu instid0(VALU_DEP_1) | instskip(NEXT) | instid1(VALU_DEP_1)
	v_sub_nc_u32_e32 v10, v6, v8
	v_subrev_co_ci_u32_e64 v10, s2, s19, v10, vcc_lo
	v_add_co_u32 v11, s2, v2, 2
	s_delay_alu instid0(VALU_DEP_1) | instskip(SKIP_3) | instid1(VALU_DEP_3)
	v_add_co_ci_u32_e64 v12, s2, 0, v9, s2
	v_sub_co_u32 v13, s2, v7, s18
	v_sub_co_ci_u32_e32 v8, vcc_lo, v6, v8, vcc_lo
	v_subrev_co_ci_u32_e64 v10, s2, 0, v10, s2
	v_cmp_le_u32_e32 vcc_lo, s18, v13
	s_delay_alu instid0(VALU_DEP_3) | instskip(SKIP_1) | instid1(VALU_DEP_4)
	v_cmp_eq_u32_e64 s2, s19, v8
	v_cndmask_b32_e64 v13, 0, -1, vcc_lo
	v_cmp_le_u32_e32 vcc_lo, s19, v10
	v_cndmask_b32_e64 v14, 0, -1, vcc_lo
	v_cmp_le_u32_e32 vcc_lo, s18, v7
	;; [unrolled: 2-line block ×3, first 2 shown]
	v_cndmask_b32_e64 v15, 0, -1, vcc_lo
	v_cmp_eq_u32_e32 vcc_lo, s19, v10
	s_delay_alu instid0(VALU_DEP_2) | instskip(SKIP_3) | instid1(VALU_DEP_3)
	v_cndmask_b32_e64 v7, v15, v7, s2
	v_cndmask_b32_e32 v10, v14, v13, vcc_lo
	v_add_co_u32 v13, vcc_lo, v2, 1
	v_add_co_ci_u32_e32 v14, vcc_lo, 0, v9, vcc_lo
	v_cmp_ne_u32_e32 vcc_lo, 0, v10
	s_delay_alu instid0(VALU_DEP_2) | instskip(NEXT) | instid1(VALU_DEP_4)
	v_cndmask_b32_e32 v8, v14, v12, vcc_lo
	v_cndmask_b32_e32 v10, v13, v11, vcc_lo
	v_cmp_ne_u32_e32 vcc_lo, 0, v7
	s_delay_alu instid0(VALU_DEP_2)
	v_dual_cndmask_b32 v7, v2, v10 :: v_dual_cndmask_b32 v8, v9, v8
.LBB0_4:                                ;   in Loop: Header=BB0_2 Depth=1
	s_and_not1_saveexec_b32 s2, s3
	s_cbranch_execz .LBB0_6
; %bb.5:                                ;   in Loop: Header=BB0_2 Depth=1
	v_cvt_f32_u32_e32 v2, s18
	s_sub_i32 s3, 0, s18
	s_delay_alu instid0(VALU_DEP_1) | instskip(SKIP_2) | instid1(VALU_DEP_1)
	v_rcp_iflag_f32_e32 v2, v2
	s_waitcnt_depctr 0xfff
	v_mul_f32_e32 v2, 0x4f7ffffe, v2
	v_cvt_u32_f32_e32 v2, v2
	s_delay_alu instid0(VALU_DEP_1) | instskip(NEXT) | instid1(VALU_DEP_1)
	v_mul_lo_u32 v7, s3, v2
	v_mul_hi_u32 v7, v2, v7
	s_delay_alu instid0(VALU_DEP_1) | instskip(NEXT) | instid1(VALU_DEP_1)
	v_add_nc_u32_e32 v2, v2, v7
	v_mul_hi_u32 v2, v5, v2
	s_delay_alu instid0(VALU_DEP_1) | instskip(SKIP_1) | instid1(VALU_DEP_2)
	v_mul_lo_u32 v7, v2, s18
	v_add_nc_u32_e32 v8, 1, v2
	v_sub_nc_u32_e32 v7, v5, v7
	s_delay_alu instid0(VALU_DEP_1) | instskip(SKIP_1) | instid1(VALU_DEP_2)
	v_subrev_nc_u32_e32 v9, s18, v7
	v_cmp_le_u32_e32 vcc_lo, s18, v7
	v_dual_cndmask_b32 v7, v7, v9 :: v_dual_cndmask_b32 v2, v2, v8
	s_delay_alu instid0(VALU_DEP_1) | instskip(NEXT) | instid1(VALU_DEP_2)
	v_cmp_le_u32_e32 vcc_lo, s18, v7
	v_add_nc_u32_e32 v8, 1, v2
	s_delay_alu instid0(VALU_DEP_1)
	v_dual_cndmask_b32 v7, v2, v8 :: v_dual_mov_b32 v8, v1
.LBB0_6:                                ;   in Loop: Header=BB0_2 Depth=1
	s_or_b32 exec_lo, exec_lo, s2
	s_load_b64 s[2:3], s[12:13], 0x0
	s_delay_alu instid0(VALU_DEP_1) | instskip(NEXT) | instid1(VALU_DEP_2)
	v_mul_lo_u32 v2, v8, s18
	v_mul_lo_u32 v11, v7, s19
	v_mad_u64_u32 v[9:10], null, v7, s18, 0
	s_add_u32 s16, s16, 1
	s_addc_u32 s17, s17, 0
	s_add_u32 s12, s12, 8
	s_addc_u32 s13, s13, 0
	;; [unrolled: 2-line block ×3, first 2 shown]
	s_delay_alu instid0(VALU_DEP_1) | instskip(SKIP_1) | instid1(VALU_DEP_2)
	v_add3_u32 v2, v10, v11, v2
	v_sub_co_u32 v9, vcc_lo, v5, v9
	v_sub_co_ci_u32_e32 v2, vcc_lo, v6, v2, vcc_lo
	s_waitcnt lgkmcnt(0)
	s_delay_alu instid0(VALU_DEP_2) | instskip(NEXT) | instid1(VALU_DEP_2)
	v_mul_lo_u32 v10, s3, v9
	v_mul_lo_u32 v2, s2, v2
	v_mad_u64_u32 v[5:6], null, s2, v9, v[3:4]
	v_cmp_ge_u64_e64 s2, s[16:17], s[6:7]
	s_delay_alu instid0(VALU_DEP_1) | instskip(NEXT) | instid1(VALU_DEP_2)
	s_and_b32 vcc_lo, exec_lo, s2
	v_add3_u32 v4, v10, v6, v2
	s_delay_alu instid0(VALU_DEP_3)
	v_mov_b32_e32 v3, v5
	s_cbranch_vccnz .LBB0_9
; %bb.7:                                ;   in Loop: Header=BB0_2 Depth=1
	v_dual_mov_b32 v5, v7 :: v_dual_mov_b32 v6, v8
	s_branch .LBB0_2
.LBB0_8:
	v_dual_mov_b32 v8, v6 :: v_dual_mov_b32 v7, v5
.LBB0_9:
	s_lshl_b64 s[2:3], s[6:7], 3
	v_mul_hi_u32 v1, 0x5d1745e, v0
	s_add_u32 s2, s10, s2
	s_addc_u32 s3, s11, s3
                                        ; implicit-def: $vgpr45
                                        ; implicit-def: $vgpr10
                                        ; implicit-def: $vgpr27
                                        ; implicit-def: $vgpr12
                                        ; implicit-def: $vgpr31
                                        ; implicit-def: $vgpr18
                                        ; implicit-def: $vgpr35
                                        ; implicit-def: $vgpr29
                                        ; implicit-def: $vgpr37
                                        ; implicit-def: $vgpr14
                                        ; implicit-def: $vgpr40
                                        ; implicit-def: $vgpr16
                                        ; implicit-def: $vgpr43
                                        ; implicit-def: $vgpr25
                                        ; implicit-def: $vgpr33
                                        ; implicit-def: $vgpr55
                                        ; implicit-def: $vgpr47
                                        ; implicit-def: $vgpr52
	s_load_b64 s[2:3], s[2:3], 0x0
	s_load_b64 s[0:1], s[0:1], 0x20
	v_mov_b32_e32 v21, 0
	s_delay_alu instid0(VALU_DEP_2) | instskip(NEXT) | instid1(VALU_DEP_1)
	v_mul_u32_u24_e32 v1, 44, v1
	v_sub_nc_u32_e32 v20, v0, v1
	s_waitcnt lgkmcnt(0)
	v_mul_lo_u32 v2, s2, v8
	v_mul_lo_u32 v9, s3, v7
	v_mad_u64_u32 v[5:6], null, s2, v7, v[3:4]
	v_cmp_gt_u64_e32 vcc_lo, s[0:1], v[7:8]
                                        ; implicit-def: $vgpr4
                                        ; implicit-def: $vgpr8
	s_delay_alu instid0(VALU_DEP_2) | instskip(SKIP_1) | instid1(VALU_DEP_2)
	v_add3_u32 v6, v9, v6, v2
	v_mov_b32_e32 v2, 0
	v_lshlrev_b64 v[22:23], 3, v[5:6]
                                        ; implicit-def: $vgpr6
	s_and_saveexec_b32 s1, vcc_lo
	s_cbranch_execz .LBB0_13
; %bb.10:
	v_mov_b32_e32 v21, 0
	s_delay_alu instid0(VALU_DEP_2) | instskip(NEXT) | instid1(VALU_DEP_1)
	v_add_co_u32 v2, s0, s8, v22
	v_add_co_ci_u32_e64 v3, s0, s9, v23, s0
	s_delay_alu instid0(VALU_DEP_3) | instskip(SKIP_1) | instid1(VALU_DEP_1)
	v_lshlrev_b64 v[0:1], 3, v[20:21]
	s_mov_b32 s2, exec_lo
                                        ; implicit-def: $vgpr54
	v_add_co_u32 v0, s0, v2, v0
	s_delay_alu instid0(VALU_DEP_1) | instskip(SKIP_1) | instid1(VALU_DEP_3)
	v_add_co_ci_u32_e64 v1, s0, v3, v1, s0
	v_mov_b32_e32 v2, v21
	v_add_co_u32 v48, s0, 0x1000, v0
	s_delay_alu instid0(VALU_DEP_1)
	v_add_co_ci_u32_e64 v49, s0, 0, v1, s0
	s_clause 0x13
	global_load_b64 v[9:10], v[0:1], off offset:4048
	global_load_b64 v[3:4], v[0:1], off
	global_load_b64 v[5:6], v[0:1], off offset:352
	global_load_b64 v[7:8], v[0:1], off offset:704
	;; [unrolled: 1-line block ×18, first 2 shown]
	v_cmpx_gt_u32_e32 22, v20
	s_cbranch_execz .LBB0_12
; %bb.11:
	s_clause 0x1
	global_load_b64 v[1:2], v[0:1], off offset:3520
	global_load_b64 v[54:55], v[48:49], off offset:3120
	s_waitcnt vmcnt(1)
	v_mov_b32_e32 v21, v1
.LBB0_12:
	s_or_b32 exec_lo, exec_lo, s2
.LBB0_13:
	s_delay_alu instid0(SALU_CYCLE_1)
	s_or_b32 exec_lo, exec_lo, s1
	s_waitcnt vmcnt(0)
	v_dual_sub_f32 v49, v3, v44 :: v_dual_sub_f32 v68, v32, v46
	v_dual_sub_f32 v57, v5, v9 :: v_dual_sub_f32 v42, v15, v42
	v_dual_sub_f32 v59, v7, v26 :: v_dual_add_nc_u32 v66, 44, v20
	v_dual_sub_f32 v61, v11, v30 :: v_dual_add_nc_u32 v72, 0xdc, v20
	;; [unrolled: 1-line block ×3, first 2 shown]
	v_sub_f32_e32 v65, v28, v36
	v_dual_sub_f32 v39, v13, v39 :: v_dual_add_nc_u32 v30, 0x134, v20
	v_sub_f32_e32 v51, v24, v51
	v_dual_sub_f32 v1, v21, v54 :: v_dual_add_nc_u32 v34, 0x18c, v20
	v_fma_f32 v67, v32, 2.0, -v68
	v_add_nc_u32_e32 v69, 0x58, v20
	v_add_nc_u32_e32 v71, 0x84, v20
	;; [unrolled: 1-line block ×5, first 2 shown]
	v_fma_f32 v48, v3, 2.0, -v49
	v_fma_f32 v56, v5, 2.0, -v57
	;; [unrolled: 1-line block ×10, first 2 shown]
	v_lshl_add_u32 v11, v20, 3, 0
	v_lshl_add_u32 v9, v66, 3, 0
	;; [unrolled: 1-line block ×10, first 2 shown]
	v_cmp_gt_u32_e64 s0, 22, v20
	v_lshl_add_u32 v17, v19, 3, 0
	ds_store_b64 v11, v[48:49]
	ds_store_b64 v9, v[56:57]
	;; [unrolled: 1-line block ×10, first 2 shown]
	s_and_saveexec_b32 s1, s0
	s_cbranch_execz .LBB0_15
; %bb.14:
	ds_store_b64 v17, v[0:1]
.LBB0_15:
	s_or_b32 exec_lo, exec_lo, s1
	v_lshl_add_u32 v21, v20, 2, 0
	s_waitcnt lgkmcnt(0)
	s_barrier
	buffer_gl0_inv
	ds_load_2addr_b32 v[58:59], v21 offset1:44
	ds_load_2addr_b32 v[56:57], v21 offset0:88 offset1:132
	v_add_nc_u32_e32 v3, 0x400, v21
	v_add_nc_u32_e32 v38, 0x800, v21
	;; [unrolled: 1-line block ×4, first 2 shown]
	ds_load_2addr_b32 v[53:54], v3 offset0:206 offset1:250
	ds_load_2addr_b32 v[48:49], v38 offset0:38 offset1:82
	;; [unrolled: 1-line block ×8, first 2 shown]
	s_and_saveexec_b32 s1, s0
	s_cbranch_execz .LBB0_17
; %bb.16:
	ds_load_b32 v0, v21 offset:1760
	ds_load_b32 v1, v21 offset:3608
.LBB0_17:
	s_or_b32 exec_lo, exec_lo, s1
	v_dual_sub_f32 v45, v4, v45 :: v_dual_sub_f32 v68, v6, v10
	v_sub_f32_e32 v3, v2, v55
	v_sub_f32_e32 v75, v8, v27
	;; [unrolled: 1-line block ×4, first 2 shown]
	v_fma_f32 v44, v4, 2.0, -v45
	v_sub_f32_e32 v81, v29, v37
	v_sub_f32_e32 v83, v14, v40
	;; [unrolled: 1-line block ×5, first 2 shown]
	v_fma_f32 v2, v2, 2.0, -v3
	v_fma_f32 v67, v6, 2.0, -v68
	;; [unrolled: 1-line block ×10, first 2 shown]
	s_waitcnt lgkmcnt(0)
	s_barrier
	buffer_gl0_inv
	ds_store_b64 v11, v[44:45]
	ds_store_b64 v9, v[67:68]
	;; [unrolled: 1-line block ×10, first 2 shown]
	s_and_saveexec_b32 s1, s0
	s_cbranch_execz .LBB0_19
; %bb.18:
	ds_store_b64 v17, v[2:3]
.LBB0_19:
	s_or_b32 exec_lo, exec_lo, s1
	v_add_nc_u32_e32 v8, 0x800, v21
	v_add_nc_u32_e32 v10, 0x400, v21
	;; [unrolled: 1-line block ×4, first 2 shown]
	s_waitcnt lgkmcnt(0)
	s_barrier
	buffer_gl0_inv
	ds_load_2addr_b32 v[4:5], v21 offset1:44
	ds_load_2addr_b32 v[24:25], v10 offset0:206 offset1:250
	ds_load_2addr_b32 v[6:7], v21 offset0:88 offset1:132
	;; [unrolled: 1-line block ×9, first 2 shown]
	v_lshlrev_b32_e32 v10, 1, v20
	v_lshlrev_b32_e32 v33, 1, v66
	;; [unrolled: 1-line block ×10, first 2 shown]
	s_and_saveexec_b32 s1, s0
	s_cbranch_execz .LBB0_21
; %bb.20:
	ds_load_b32 v2, v21 offset:1760
	ds_load_b32 v3, v21 offset:3608
.LBB0_21:
	s_or_b32 exec_lo, exec_lo, s1
	v_and_b32_e32 v36, 1, v20
	s_delay_alu instid0(VALU_DEP_1)
	v_lshlrev_b32_e32 v30, 3, v36
	v_and_or_b32 v33, 0xfc, v33, v36
	v_and_or_b32 v47, 0x1fc, v40, v36
	global_load_b64 v[30:31], v30, s[4:5]
	v_lshl_add_u32 v40, v33, 2, 0
	s_waitcnt vmcnt(0) lgkmcnt(0)
	s_barrier
	buffer_gl0_inv
	v_mul_f32_e32 v33, v26, v31
	v_and_or_b32 v55, 0x2fc, v44, v36
	v_and_or_b32 v67, 0x2fc, v45, v36
	;; [unrolled: 1-line block ×4, first 2 shown]
	v_lshl_add_u32 v45, v47, 2, 0
	v_lshl_add_u32 v47, v55, 2, 0
	;; [unrolled: 1-line block ×4, first 2 shown]
	v_dual_mul_f32 v32, v25, v31 :: v_dual_fmac_f32 v33, v48, v30
	v_mul_f32_e32 v67, v8, v31
	v_and_or_b32 v10, 0x7c, v10, v36
	v_and_or_b32 v35, 0x1fc, v35, v36
	s_delay_alu instid0(VALU_DEP_4)
	v_fmac_f32_e32 v32, v54, v30
	v_and_or_b32 v46, 0x1fc, v37, v36
	v_and_or_b32 v52, 0x3fc, v43, v36
	v_lshl_add_u32 v75, v34, 2, 0
	v_dual_mul_f32 v34, v27, v31 :: v_dual_fmac_f32 v67, v41, v30
	v_mul_f32_e32 v77, v18, v31
	v_lshl_add_u32 v37, v10, 2, 0
	v_lshl_add_u32 v43, v35, 2, 0
	s_delay_alu instid0(VALU_DEP_4)
	v_fmac_f32_e32 v34, v49, v30
	v_lshl_add_u32 v44, v46, 2, 0
	v_lshl_add_u32 v46, v52, 2, 0
	v_mul_f32_e32 v35, v28, v31
	v_mul_f32_e32 v10, v24, v31
	v_dual_mul_f32 v52, v29, v31 :: v_dual_fmac_f32 v77, v39, v30
	v_mul_f32_e32 v78, v3, v31
	v_dual_mul_f32 v68, v9, v31 :: v_dual_sub_f32 v33, v56, v33
	v_fmac_f32_e32 v35, v50, v30
	v_dual_fmac_f32 v10, v53, v30 :: v_dual_lshlrev_b32 v19, 1, v19
	v_sub_f32_e32 v79, v62, v67
	v_sub_f32_e32 v77, v65, v77
	v_fmac_f32_e32 v78, v1, v30
	v_mul_f32_e32 v76, v17, v31
	v_dual_fmac_f32 v52, v51, v30 :: v_dual_sub_f32 v35, v60, v35
	v_fmac_f32_e32 v68, v42, v30
	v_sub_f32_e32 v10, v58, v10
	v_sub_f32_e32 v67, v0, v78
	v_fmac_f32_e32 v76, v38, v30
	v_sub_f32_e32 v32, v59, v32
	v_sub_f32_e32 v34, v57, v34
	;; [unrolled: 1-line block ×5, first 2 shown]
	v_fma_f32 v58, v58, 2.0, -v10
	v_fma_f32 v59, v59, 2.0, -v32
	;; [unrolled: 1-line block ×10, first 2 shown]
	ds_store_2addr_b32 v37, v58, v10 offset1:2
	ds_store_2addr_b32 v40, v59, v32 offset1:2
	;; [unrolled: 1-line block ×10, first 2 shown]
	s_and_saveexec_b32 s1, s0
	s_cbranch_execz .LBB0_23
; %bb.22:
	v_and_or_b32 v10, 0x3fc, v19, v36
	v_fma_f32 v0, v0, 2.0, -v67
	s_delay_alu instid0(VALU_DEP_2)
	v_lshl_add_u32 v10, v10, 2, 0
	ds_store_2addr_b32 v10, v0, v67 offset1:2
.LBB0_23:
	s_or_b32 exec_lo, exec_lo, s1
	v_mul_f32_e32 v10, v54, v31
	v_mul_f32_e32 v1, v1, v31
	v_dual_mul_f32 v33, v49, v31 :: v_dual_add_nc_u32 v52, 0x800, v21
	s_waitcnt lgkmcnt(0)
	s_delay_alu instid0(VALU_DEP_3)
	v_fma_f32 v10, v25, v30, -v10
	v_mul_f32_e32 v32, v48, v31
	v_fma_f32 v1, v3, v30, -v1
	s_barrier
	buffer_gl0_inv
	v_sub_f32_e32 v3, v5, v10
	v_fma_f32 v25, v26, v30, -v32
	v_mul_f32_e32 v32, v38, v31
	v_fma_f32 v26, v27, v30, -v33
	v_mul_f32_e32 v0, v53, v31
	s_delay_alu instid0(VALU_DEP_4) | instskip(NEXT) | instid1(VALU_DEP_4)
	v_dual_mul_f32 v33, v39, v31 :: v_dual_sub_f32 v38, v6, v25
	v_fma_f32 v17, v17, v30, -v32
	s_delay_alu instid0(VALU_DEP_4) | instskip(NEXT) | instid1(VALU_DEP_4)
	v_dual_mul_f32 v34, v50, v31 :: v_dual_sub_f32 v39, v7, v26
	v_fma_f32 v0, v24, v30, -v0
	v_mul_f32_e32 v24, v51, v31
	s_delay_alu instid0(VALU_DEP_4) | instskip(NEXT) | instid1(VALU_DEP_4)
	v_sub_f32_e32 v17, v15, v17
	v_fma_f32 v27, v28, v30, -v34
	v_dual_mul_f32 v28, v41, v31 :: v_dual_add_nc_u32 v49, 0xc00, v21
	s_delay_alu instid0(VALU_DEP_4) | instskip(NEXT) | instid1(VALU_DEP_3)
	v_fma_f32 v24, v29, v30, -v24
	v_dual_sub_f32 v0, v4, v0 :: v_dual_sub_f32 v41, v11, v27
	v_add_nc_u32_e32 v48, 0x400, v21
	s_delay_alu instid0(VALU_DEP_4)
	v_fma_f32 v8, v8, v30, -v28
	v_mul_f32_e32 v29, v42, v31
	v_fma_f32 v18, v18, v30, -v33
	v_fma_f32 v42, v4, 2.0, -v0
	v_fma_f32 v51, v5, 2.0, -v3
	v_sub_f32_e32 v58, v13, v8
	v_fma_f32 v9, v9, v30, -v29
	v_fma_f32 v53, v6, 2.0, -v38
	v_fma_f32 v54, v7, 2.0, -v39
	;; [unrolled: 1-line block ×3, first 2 shown]
	v_sub_f32_e32 v57, v12, v24
	v_sub_f32_e32 v59, v14, v9
	ds_load_2addr_b32 v[6:7], v21 offset1:44
	ds_load_2addr_b32 v[4:5], v48 offset0:8 offset1:52
	ds_load_2addr_b32 v[34:35], v52 offset0:104 offset1:148
	;; [unrolled: 1-line block ×9, first 2 shown]
	ds_load_b32 v50, v21 offset:3520
	v_sub_f32_e32 v18, v16, v18
	v_sub_f32_e32 v68, v2, v1
	v_fma_f32 v12, v12, 2.0, -v57
	v_fma_f32 v13, v13, 2.0, -v58
	;; [unrolled: 1-line block ×5, first 2 shown]
	s_waitcnt lgkmcnt(0)
	s_barrier
	buffer_gl0_inv
	ds_store_2addr_b32 v37, v42, v0 offset1:2
	ds_store_2addr_b32 v40, v51, v3 offset1:2
	;; [unrolled: 1-line block ×10, first 2 shown]
	s_and_saveexec_b32 s1, s0
	s_cbranch_execz .LBB0_25
; %bb.24:
	v_and_or_b32 v0, 0x3fc, v19, v36
	v_fma_f32 v1, v2, 2.0, -v68
	s_delay_alu instid0(VALU_DEP_2)
	v_lshl_add_u32 v0, v0, 2, 0
	ds_store_2addr_b32 v0, v1, v68 offset1:2
.LBB0_25:
	s_or_b32 exec_lo, exec_lo, s1
	v_and_b32_e32 v53, 3, v20
	s_waitcnt lgkmcnt(0)
	s_barrier
	buffer_gl0_inv
	v_lshrrev_b32_e32 v56, 2, v69
	v_lshlrev_b32_e32 v0, 4, v53
	v_lshrrev_b32_e32 v54, 2, v20
	v_lshrrev_b32_e32 v55, 2, v66
	;; [unrolled: 1-line block ×3, first 2 shown]
	v_mul_u32_u24_e32 v56, 12, v56
	global_load_b128 v[0:3], v0, s[4:5] offset:16
	ds_load_2addr_b32 v[16:17], v21 offset1:44
	ds_load_2addr_b32 v[12:13], v48 offset0:8 offset1:52
	ds_load_2addr_b32 v[46:47], v52 offset0:104 offset1:148
	;; [unrolled: 1-line block ×9, first 2 shown]
	ds_load_b32 v51, v21 offset:3520
	v_and_b32_e32 v60, 0xff, v20
	v_lshrrev_b32_e32 v58, 2, v73
	v_lshrrev_b32_e32 v59, 2, v72
	;; [unrolled: 1-line block ×3, first 2 shown]
	v_and_b32_e32 v62, 0xff, v66
	v_mul_lo_u16 v60, 0xab, v60
	v_or_b32_e32 v56, v56, v53
	v_and_b32_e32 v63, 0xff, v69
	v_mul_u32_u24_e32 v54, 12, v54
	v_mul_u32_u24_e32 v55, 12, v55
	v_lshrrev_b16 v64, 11, v60
	v_mul_u32_u24_e32 v57, 12, v57
	v_mul_u32_u24_e32 v58, 12, v58
	;; [unrolled: 1-line block ×4, first 2 shown]
	v_mul_lo_u16 v60, v64, 12
	s_waitcnt vmcnt(0) lgkmcnt(0)
	s_barrier
	buffer_gl0_inv
	v_cmp_gt_u32_e64 s0, 40, v20
	v_sub_nc_u16 v60, v20, v60
	s_delay_alu instid0(VALU_DEP_1) | instskip(SKIP_2) | instid1(VALU_DEP_3)
	v_and_b32_e32 v65, 0xff, v60
	v_lshl_add_u32 v60, v56, 2, 0
	v_mul_f32_e32 v74, v44, v1
	v_mul_u32_u24_e32 v56, 6, v65
	v_mul_f32_e32 v75, v28, v1
	v_mul_lo_u16 v62, 0xab, v62
	v_mul_f32_e32 v72, v46, v3
	v_mul_lo_u16 v63, 0xab, v63
	v_dual_mul_f32 v76, v47, v3 :: v_dual_lshlrev_b32 v71, 3, v56
	v_mul_f32_e32 v56, v5, v1
	v_or_b32_e32 v54, v54, v53
	v_or_b32_e32 v55, v55, v53
	;; [unrolled: 1-line block ×6, first 2 shown]
	v_lshrrev_b16 v61, 11, v62
	v_lshrrev_b16 v62, 11, v63
	v_lshl_add_u32 v63, v55, 2, 0
	v_mul_f32_e32 v73, v34, v3
	v_dual_mul_f32 v77, v35, v3 :: v_dual_mul_f32 v82, v40, v1
	v_mul_lo_u16 v55, v61, 12
	v_mul_f32_e32 v78, v45, v1
	v_dual_mul_f32 v79, v29, v1 :: v_dual_mul_f32 v80, v42, v3
	v_dual_mul_f32 v81, v32, v3 :: v_dual_mul_f32 v86, v41, v1
	s_delay_alu instid0(VALU_DEP_4) | instskip(SKIP_2) | instid1(VALU_DEP_3)
	v_sub_nc_u16 v55, v66, v55
	v_dual_mul_f32 v83, v30, v1 :: v_dual_mul_f32 v84, v43, v3
	v_dual_mul_f32 v85, v33, v3 :: v_dual_mul_f32 v90, v36, v1
	v_and_b32_e32 v101, 0xff, v55
	v_mul_f32_e32 v55, v13, v1
	v_dual_mul_f32 v87, v31, v1 :: v_dual_mul_f32 v88, v38, v3
	v_dual_mul_f32 v89, v26, v3 :: v_dual_mul_f32 v94, v37, v1
	;; [unrolled: 1-line block ×3, first 2 shown]
	v_dual_mul_f32 v93, v27, v3 :: v_dual_fmac_f32 v72, v34, v2
	v_dual_mul_f32 v1, v25, v1 :: v_dual_fmac_f32 v76, v35, v2
	;; [unrolled: 1-line block ×4, first 2 shown]
	v_dual_fmac_f32 v55, v5, v0 :: v_dual_fmac_f32 v80, v32, v2
	v_fma_f32 v5, v13, v0, -v56
	v_fma_f32 v13, v46, v2, -v73
	;; [unrolled: 1-line block ×6, first 2 shown]
	v_fmac_f32_e32 v82, v30, v0
	v_fma_f32 v30, v40, v0, -v83
	v_fmac_f32_e32 v84, v33, v2
	v_fma_f32 v33, v43, v2, -v85
	v_dual_fmac_f32 v86, v31, v0 :: v_dual_fmac_f32 v95, v50, v2
	v_fma_f32 v31, v41, v0, -v87
	v_dual_fmac_f32 v88, v26, v2 :: v_dual_add_f32 v35, v16, v5
	v_fma_f32 v26, v38, v2, -v89
	v_fmac_f32_e32 v90, v24, v0
	v_fma_f32 v24, v36, v0, -v91
	v_dual_fmac_f32 v92, v27, v2 :: v_dual_sub_f32 v41, v74, v76
	v_fma_f32 v27, v39, v2, -v93
	v_fmac_f32_e32 v94, v25, v0
	v_fma_f32 v0, v37, v0, -v1
	v_add_f32_e32 v37, v7, v74
	v_fma_f32 v1, v51, v2, -v3
	v_add_f32_e32 v3, v55, v72
	v_dual_sub_f32 v25, v5, v13 :: v_dual_add_f32 v38, v74, v76
	v_dual_add_f32 v47, v11, v82 :: v_dual_add_f32 v2, v6, v55
	v_sub_f32_e32 v39, v28, v34
	v_add_f32_e32 v5, v5, v13
	v_dual_add_f32 v40, v17, v28 :: v_dual_sub_f32 v51, v30, v33
	v_dual_add_f32 v28, v28, v34 :: v_dual_add_f32 v43, v78, v80
	v_dual_sub_f32 v36, v55, v72 :: v_dual_add_f32 v45, v18, v29
	v_dual_sub_f32 v44, v29, v32 :: v_dual_add_f32 v55, v19, v30
	;; [unrolled: 1-line block ×3, first 2 shown]
	v_dual_add_f32 v50, v82, v84 :: v_dual_sub_f32 v75, v31, v26
	v_add_f32_e32 v30, v30, v33
	v_dual_sub_f32 v56, v82, v84 :: v_dual_add_f32 v79, v9, v90
	v_dual_add_f32 v74, v86, v88 :: v_dual_sub_f32 v89, v0, v1
	v_add_f32_e32 v77, v14, v31
	v_add_f32_e32 v31, v31, v26
	v_dual_add_f32 v81, v90, v92 :: v_dual_sub_f32 v82, v24, v27
	v_dual_add_f32 v83, v15, v24 :: v_dual_add_f32 v24, v24, v27
	v_sub_f32_e32 v85, v90, v92
	v_dual_add_f32 v87, v94, v95 :: v_dual_add_f32 v90, v12, v0
	v_add_f32_e32 v0, v0, v1
	v_fma_f32 v3, -0.5, v3, v6
	v_dual_add_f32 v42, v10, v78 :: v_dual_add_f32 v29, v29, v32
	v_dual_sub_f32 v78, v86, v88 :: v_dual_fmac_f32 v7, -0.5, v38
	v_fma_f32 v5, -0.5, v5, v16
	v_fma_f32 v10, -0.5, v43, v10
	v_lshl_add_u32 v54, v54, 2, 0
	v_add_f32_e32 v86, v4, v94
	v_dual_add_f32 v2, v2, v72 :: v_dual_fmac_f32 v11, -0.5, v50
	v_dual_add_f32 v32, v45, v32 :: v_dual_fmac_f32 v19, -0.5, v30
	;; [unrolled: 1-line block ×3, first 2 shown]
	v_fma_f32 v8, -0.5, v74, v8
	v_fma_f32 v14, -0.5, v31, v14
	v_dual_add_f32 v31, v79, v92 :: v_dual_fmac_f32 v4, -0.5, v87
	v_dual_add_f32 v27, v83, v27 :: v_dual_fmac_f32 v12, -0.5, v0
	v_fmac_f32_e32 v15, -0.5, v24
	v_dual_add_f32 v1, v90, v1 :: v_dual_fmamk_f32 v0, v25, 0xbf5db3d7, v3
	v_fmac_f32_e32 v3, 0x3f5db3d7, v25
	v_dual_sub_f32 v91, v94, v95 :: v_dual_add_f32 v6, v35, v13
	v_dual_add_f32 v13, v37, v76 :: v_dual_add_f32 v16, v40, v34
	v_dual_fmac_f32 v17, -0.5, v28 :: v_dual_add_f32 v26, v77, v26
	v_fmamk_f32 v34, v39, 0xbf5db3d7, v7
	v_dual_fmac_f32 v7, 0x3f5db3d7, v39 :: v_dual_add_f32 v28, v42, v80
	v_add_f32_e32 v33, v55, v33
	v_fma_f32 v18, -0.5, v29, v18
	v_fmamk_f32 v25, v36, 0x3f5db3d7, v5
	v_dual_fmac_f32 v5, 0xbf5db3d7, v36 :: v_dual_fmamk_f32 v36, v44, 0xbf5db3d7, v10
	v_lshl_add_u32 v57, v57, 2, 0
	v_lshl_add_u32 v58, v58, 2, 0
	;; [unrolled: 1-line block ×4, first 2 shown]
	v_dual_add_f32 v29, v47, v84 :: v_dual_add_f32 v24, v86, v95
	v_fmac_f32_e32 v10, 0x3f5db3d7, v44
	v_fmamk_f32 v38, v51, 0xbf5db3d7, v11
	v_fmac_f32_e32 v11, 0x3f5db3d7, v51
	v_fmamk_f32 v39, v56, 0x3f5db3d7, v19
	v_dual_fmac_f32 v19, 0xbf5db3d7, v56 :: v_dual_fmamk_f32 v40, v75, 0xbf5db3d7, v8
	v_fmac_f32_e32 v8, 0x3f5db3d7, v75
	v_fmamk_f32 v42, v82, 0xbf5db3d7, v9
	v_fmac_f32_e32 v9, 0x3f5db3d7, v82
	v_fmamk_f32 v43, v85, 0x3f5db3d7, v15
	v_dual_fmac_f32 v15, 0xbf5db3d7, v85 :: v_dual_fmamk_f32 v44, v89, 0xbf5db3d7, v4
	v_fmac_f32_e32 v4, 0x3f5db3d7, v89
	ds_store_2addr_b32 v54, v2, v0 offset1:4
	ds_store_b32 v54, v3 offset:32
	ds_store_2addr_b32 v63, v13, v34 offset1:4
	ds_store_b32 v63, v7 offset:32
	;; [unrolled: 2-line block ×7, first 2 shown]
	v_mul_u32_u24_e32 v0, 6, v101
	v_fmamk_f32 v35, v41, 0x3f5db3d7, v17
	v_fmac_f32_e32 v17, 0xbf5db3d7, v41
	v_fmamk_f32 v37, v46, 0x3f5db3d7, v18
	v_mul_lo_u16 v70, v62, 12
	v_fmac_f32_e32 v18, 0xbf5db3d7, v46
	v_fmamk_f32 v41, v78, 0x3f5db3d7, v14
	v_fmac_f32_e32 v14, 0xbf5db3d7, v78
	v_fmamk_f32 v45, v91, 0x3f5db3d7, v12
	v_fmac_f32_e32 v12, 0xbf5db3d7, v91
	s_waitcnt lgkmcnt(0)
	s_barrier
	buffer_gl0_inv
	ds_load_2addr_b32 v[46:47], v21 offset1:44
	ds_load_2addr_b32 v[50:51], v21 offset0:88 offset1:132
	ds_load_2addr_b32 v[55:56], v48 offset0:8 offset1:52
	;; [unrolled: 1-line block ×9, first 2 shown]
	ds_load_b32 v24, v21 offset:3520
	s_waitcnt lgkmcnt(0)
	s_barrier
	buffer_gl0_inv
	v_lshlrev_b32_e32 v0, 3, v0
	ds_store_2addr_b32 v54, v6, v25 offset1:4
	ds_store_b32 v54, v5 offset:32
	ds_store_2addr_b32 v63, v16, v35 offset1:4
	ds_store_b32 v63, v17 offset:32
	;; [unrolled: 2-line block ×7, first 2 shown]
	s_waitcnt lgkmcnt(0)
	s_barrier
	buffer_gl0_inv
	s_clause 0x2
	global_load_b128 v[25:28], v71, s[4:5] offset:80
	global_load_b128 v[29:32], v71, s[4:5] offset:96
	;; [unrolled: 1-line block ×3, first 2 shown]
	v_sub_nc_u16 v1, v69, v70
	s_clause 0x1
	global_load_b128 v[37:40], v0, s[4:5] offset:80
	global_load_b128 v[57:60], v0, s[4:5] offset:96
	v_and_b32_e32 v3, 0xffff, v62
	v_lshlrev_b32_e32 v6, 2, v65
	v_and_b32_e32 v2, 0xff, v1
	v_lshlrev_b32_e32 v8, 2, v101
	v_add_nc_u32_e32 v4, 0x600, v21
	s_delay_alu instid0(VALU_DEP_3) | instskip(NEXT) | instid1(VALU_DEP_1)
	v_mul_u32_u24_e32 v1, 6, v2
	v_lshlrev_b32_e32 v1, 3, v1
	s_clause 0x3
	global_load_b128 v[69:72], v0, s[4:5] offset:112
	global_load_b128 v[73:76], v1, s[4:5] offset:80
	;; [unrolled: 1-line block ×4, first 2 shown]
	ds_load_2addr_b32 v[103:104], v52 offset0:16 offset1:60
	ds_load_2addr_b32 v[105:106], v52 offset0:104 offset1:148
	v_and_b32_e32 v0, 0xffff, v64
	ds_load_2addr_b32 v[99:100], v48 offset0:8 offset1:52
	v_and_b32_e32 v1, 0xffff, v61
	ds_load_2addr_b32 v[101:102], v48 offset0:96 offset1:140
	ds_load_2addr_b32 v[107:108], v49 offset0:24 offset1:68
	v_mul_u32_u24_e32 v5, 0x150, v0
	s_delay_alu instid0(VALU_DEP_1)
	v_add3_u32 v6, 0, v5, v6
	s_waitcnt vmcnt(8) lgkmcnt(2)
	v_mul_f32_e32 v41, v99, v28
	s_waitcnt vmcnt(7)
	v_mul_f32_e32 v44, v103, v32
	v_mul_f32_e32 v32, v87, v32
	v_mul_u32_u24_e32 v3, 0x150, v3
	s_waitcnt vmcnt(6)
	v_mul_f32_e32 v45, v106, v34
	v_lshlrev_b32_e32 v2, 2, v2
	v_mul_u32_u24_e32 v7, 0x150, v1
	ds_load_2addr_b32 v[0:1], v21 offset0:88 offset1:132
	v_mul_f32_e32 v28, v55, v28
	v_mul_f32_e32 v34, v90, v34
	v_add3_u32 v5, 0, v3, v2
	ds_load_2addr_b32 v[2:3], v21 offset1:44
	ds_load_2addr_b32 v[109:110], v21 offset0:176 offset1:220
	ds_load_2addr_b32 v[111:112], v48 offset0:184 offset1:228
	;; [unrolled: 1-line block ×3, first 2 shown]
	ds_load_b32 v49, v21 offset:3520
	v_add3_u32 v7, 0, v7, v8
	v_mul_f32_e32 v19, v51, v26
	s_waitcnt lgkmcnt(7)
	v_mul_f32_e32 v43, v102, v30
	v_mul_f32_e32 v30, v86, v30
	s_waitcnt lgkmcnt(6)
	v_mul_f32_e32 v54, v107, v36
	v_mul_f32_e32 v36, v91, v36
	s_waitcnt vmcnt(5)
	v_dual_mul_f32 v14, v100, v40 :: v_dual_fmac_f32 v41, v55, v27
	s_waitcnt vmcnt(4)
	v_mul_f32_e32 v53, v95, v58
	v_mul_f32_e32 v17, v104, v60
	s_waitcnt vmcnt(1)
	v_mul_f32_e32 v11, v105, v80
	v_fma_f32 v63, v99, v27, -v28
	v_fma_f32 v65, v106, v33, -v34
	v_dual_mul_f32 v40, v56, v40 :: v_dual_fmac_f32 v45, v90, v33
	s_waitcnt lgkmcnt(5)
	v_mul_f32_e32 v42, v1, v26
	s_waitcnt lgkmcnt(3)
	v_mul_f32_e32 v15, v109, v38
	v_mul_f32_e32 v38, v93, v38
	s_waitcnt lgkmcnt(2)
	v_dual_mul_f32 v16, v111, v58 :: v_dual_mul_f32 v9, v101, v76
	s_delay_alu instid0(VALU_DEP_3)
	v_dual_mul_f32 v60, v88, v60 :: v_dual_fmac_f32 v15, v93, v37
	v_mul_f32_e32 v8, v110, v74
	s_waitcnt vmcnt(0) lgkmcnt(0)
	v_dual_mul_f32 v74, v94, v74 :: v_dual_mul_f32 v13, v49, v84
	v_mul_f32_e32 v10, v112, v78
	v_dual_mul_f32 v18, v113, v70 :: v_dual_fmac_f32 v17, v88, v59
	v_dual_mul_f32 v115, v97, v70 :: v_dual_mul_f32 v26, v108, v72
	v_dual_fmac_f32 v9, v85, v75 :: v_dual_mul_f32 v72, v92, v72
	v_fmac_f32_e32 v11, v89, v79
	v_fma_f32 v62, v1, v25, -v19
	v_fmac_f32_e32 v43, v86, v29
	v_fma_f32 v61, v102, v29, -v30
	v_fma_f32 v64, v103, v31, -v32
	v_mul_f32_e32 v12, v114, v82
	v_fma_f32 v70, v107, v35, -v36
	v_fma_f32 v19, v110, v73, -v74
	v_fmac_f32_e32 v14, v56, v39
	v_fma_f32 v56, v104, v59, -v60
	v_sub_f32_e32 v29, v63, v65
	v_fmac_f32_e32 v10, v96, v77
	v_fmac_f32_e32 v16, v95, v57
	v_fma_f32 v57, v111, v57, -v53
	v_dual_mul_f32 v76, v85, v76 :: v_dual_fmac_f32 v13, v24, v83
	v_mul_f32_e32 v80, v89, v80
	v_fmac_f32_e32 v44, v87, v31
	v_fma_f32 v55, v100, v39, -v40
	v_fma_f32 v58, v109, v37, -v38
	v_sub_f32_e32 v37, v56, v57
	v_fma_f32 v59, v113, v69, -v115
	v_dual_mul_f32 v82, v98, v82 :: v_dual_sub_f32 v31, v64, v61
	v_fmac_f32_e32 v12, v98, v81
	v_dual_fmac_f32 v42, v51, v25 :: v_dual_sub_f32 v25, v62, v70
	v_fmac_f32_e32 v26, v92, v71
	v_fmac_f32_e32 v8, v94, v73
	v_fma_f32 v27, v101, v75, -v76
	v_add_f32_e32 v75, v31, v29
	v_dual_sub_f32 v76, v31, v29 :: v_dual_sub_f32 v31, v25, v31
	v_fmac_f32_e32 v54, v91, v35
	v_sub_f32_e32 v35, v55, v59
	v_fma_f32 v39, v114, v81, -v82
	v_mul_f32_e32 v84, v24, v84
	v_fma_f32 v60, v108, v71, -v72
	v_mul_f32_e32 v78, v96, v78
	v_fma_f32 v38, v105, v79, -v80
	v_add_f32_e32 v28, v41, v45
	v_dual_fmac_f32 v18, v97, v69 :: v_dual_sub_f32 v69, v27, v39
	v_fma_f32 v40, v49, v83, -v84
	v_add_f32_e32 v49, v8, v13
	v_add_f32_e32 v79, v37, v35
	v_dual_add_f32 v53, v9, v12 :: v_dual_add_f32 v24, v42, v54
	v_dual_sub_f32 v29, v29, v25 :: v_dual_add_f32 v32, v15, v26
	v_sub_f32_e32 v33, v58, v60
	s_delay_alu instid0(VALU_DEP_3)
	v_add_f32_e32 v81, v53, v49
	v_fma_f32 v1, v112, v77, -v78
	v_dual_sub_f32 v51, v19, v40 :: v_dual_sub_f32 v80, v37, v35
	v_add_f32_e32 v25, v75, v25
	v_mul_f32_e32 v75, 0x3f08b237, v76
	v_dual_add_f32 v73, v28, v24 :: v_dual_add_f32 v34, v14, v18
	v_sub_f32_e32 v35, v35, v33
	v_dual_add_f32 v30, v43, v44 :: v_dual_sub_f32 v37, v33, v37
	v_sub_f32_e32 v72, v38, v1
	s_delay_alu instid0(VALU_DEP_4) | instskip(SKIP_2) | instid1(VALU_DEP_4)
	v_add_f32_e32 v77, v34, v32
	v_dual_add_f32 v71, v10, v11 :: v_dual_add_f32 v36, v16, v17
	v_sub_f32_e32 v74, v28, v24
	v_dual_sub_f32 v28, v30, v28 :: v_dual_add_f32 v83, v72, v69
	v_dual_sub_f32 v78, v34, v32 :: v_dual_add_f32 v33, v79, v33
	v_sub_f32_e32 v82, v53, v49
	v_dual_sub_f32 v49, v49, v71 :: v_dual_sub_f32 v32, v32, v36
	v_dual_sub_f32 v34, v36, v34 :: v_dual_mul_f32 v79, 0x3f08b237, v80
	v_add_f32_e32 v36, v36, v77
	v_dual_sub_f32 v24, v24, v30 :: v_dual_sub_f32 v53, v71, v53
	v_dual_sub_f32 v84, v72, v69 :: v_dual_sub_f32 v69, v69, v51
	s_delay_alu instid0(VALU_DEP_3)
	v_dual_add_f32 v47, v47, v36 :: v_dual_add_f32 v30, v30, v73
	v_dual_sub_f32 v72, v51, v72 :: v_dual_mul_f32 v49, 0x3f4a47b2, v49
	v_mul_f32_e32 v73, 0x3d64c772, v28
	v_dual_add_f32 v71, v71, v81 :: v_dual_mul_f32 v24, 0x3f4a47b2, v24
	v_add_f32_e32 v51, v83, v51
	v_mul_f32_e32 v83, 0x3f08b237, v84
	v_dual_mul_f32 v81, 0x3d64c772, v53 :: v_dual_add_f32 v46, v46, v30
	s_delay_alu instid0(VALU_DEP_4)
	v_fmamk_f32 v28, v28, 0x3d64c772, v24
	v_fma_f32 v73, 0x3f3bfb3b, v74, -v73
	v_fma_f32 v24, 0xbf3bfb3b, v74, -v24
	v_fmamk_f32 v74, v31, 0xbeae86e6, v75
	v_fmamk_f32 v30, v30, 0xbf955555, v46
	v_mul_f32_e32 v77, 0x3d64c772, v34
	v_fma_f32 v75, 0xbf5ff5aa, v29, -v75
	s_delay_alu instid0(VALU_DEP_4) | instskip(NEXT) | instid1(VALU_DEP_4)
	v_fmac_f32_e32 v74, 0xbee1c552, v25
	v_add_f32_e32 v28, v28, v30
	v_mul_f32_e32 v76, 0xbf5ff5aa, v29
	s_delay_alu instid0(VALU_DEP_4) | instskip(SKIP_2) | instid1(VALU_DEP_4)
	v_fmac_f32_e32 v75, 0xbee1c552, v25
	v_dual_add_f32 v29, v50, v71 :: v_dual_fmamk_f32 v50, v53, 0x3d64c772, v49
	v_fma_f32 v53, 0x3f3bfb3b, v82, -v81
	v_fma_f32 v31, 0x3eae86e6, v31, -v76
	;; [unrolled: 1-line block ×3, first 2 shown]
	v_fmamk_f32 v77, v37, 0xbeae86e6, v79
	v_fma_f32 v49, 0xbf3bfb3b, v82, -v49
	s_barrier
	v_fmac_f32_e32 v31, 0xbee1c552, v25
	v_fmamk_f32 v25, v36, 0xbf955555, v47
	v_mul_f32_e32 v80, 0xbf5ff5aa, v35
	v_fma_f32 v35, 0xbf5ff5aa, v35, -v79
	v_dual_fmac_f32 v77, 0xbee1c552, v33 :: v_dual_add_f32 v36, v73, v30
	v_add_f32_e32 v24, v24, v30
	s_delay_alu instid0(VALU_DEP_4) | instskip(NEXT) | instid1(VALU_DEP_4)
	v_fma_f32 v37, 0x3eae86e6, v37, -v80
	v_fmac_f32_e32 v35, 0xbee1c552, v33
	v_mul_f32_e32 v84, 0xbf5ff5aa, v69
	v_fma_f32 v69, 0xbf5ff5aa, v69, -v83
	v_sub_f32_e32 v73, v36, v75
	v_dual_fmac_f32 v37, 0xbee1c552, v33 :: v_dual_add_f32 v36, v75, v36
	v_fmamk_f32 v33, v71, 0xbf955555, v29
	v_mul_f32_e32 v32, 0x3f4a47b2, v32
	v_fmac_f32_e32 v69, 0xbee1c552, v51
	v_add_f32_e32 v71, v31, v24
	v_sub_f32_e32 v75, v24, v31
	buffer_gl0_inv
	v_fmamk_f32 v34, v34, 0x3d64c772, v32
	v_fma_f32 v32, 0xbf3bfb3b, v78, -v32
	s_delay_alu instid0(VALU_DEP_2) | instskip(SKIP_1) | instid1(VALU_DEP_3)
	v_add_f32_e32 v30, v34, v25
	v_add_f32_e32 v34, v76, v25
	;; [unrolled: 1-line block ×3, first 2 shown]
	v_fmamk_f32 v78, v72, 0xbeae86e6, v83
	v_fma_f32 v72, 0x3eae86e6, v72, -v84
	s_delay_alu instid0(VALU_DEP_4) | instskip(NEXT) | instid1(VALU_DEP_3)
	v_dual_add_f32 v49, v49, v33 :: v_dual_sub_f32 v80, v34, v35
	v_dual_add_f32 v79, v37, v25 :: v_dual_fmac_f32 v78, 0xbee1c552, v51
	s_delay_alu instid0(VALU_DEP_3) | instskip(SKIP_2) | instid1(VALU_DEP_3)
	v_dual_fmac_f32 v72, 0xbee1c552, v51 :: v_dual_add_f32 v51, v53, v33
	v_dual_add_f32 v24, v35, v34 :: v_dual_sub_f32 v25, v25, v37
	v_add_f32_e32 v53, v74, v28
	v_add_f32_e32 v35, v72, v49
	;; [unrolled: 1-line block ×3, first 2 shown]
	v_sub_f32_e32 v74, v28, v74
	v_add_f32_e32 v76, v77, v30
	v_sub_f32_e32 v28, v30, v77
	s_delay_alu instid0(VALU_DEP_4)
	v_dual_sub_f32 v32, v51, v69 :: v_dual_sub_f32 v31, v50, v78
	v_dual_add_f32 v34, v78, v50 :: v_dual_add_f32 v33, v69, v51
	v_sub_f32_e32 v30, v49, v72
	ds_store_2addr_b32 v6, v46, v53 offset1:12
	ds_store_2addr_b32 v6, v71, v73 offset0:24 offset1:36
	ds_store_2addr_b32 v6, v36, v75 offset0:48 offset1:60
	ds_store_b32 v6, v74 offset:288
	ds_store_2addr_b32 v7, v47, v76 offset1:12
	ds_store_2addr_b32 v7, v79, v80 offset0:24 offset1:36
	ds_store_2addr_b32 v7, v24, v25 offset0:48 offset1:60
	ds_store_b32 v7, v28 offset:288
	;; [unrolled: 4-line block ×3, first 2 shown]
	s_waitcnt lgkmcnt(0)
	s_barrier
	buffer_gl0_inv
	ds_load_2addr_b32 v[36:37], v21 offset1:84
	ds_load_2addr_b32 v[50:51], v21 offset0:168 offset1:252
	ds_load_2addr_b32 v[46:47], v48 offset0:80 offset1:164
	;; [unrolled: 1-line block ×4, first 2 shown]
	ds_load_b32 v69, v21 offset:3360
	s_and_saveexec_b32 s1, s0
	s_cbranch_execz .LBB0_27
; %bb.26:
	v_add_nc_u32_e32 v28, 0x200, v21
	v_add_nc_u32_e32 v30, 0x400, v21
	;; [unrolled: 1-line block ×4, first 2 shown]
	ds_load_2addr_b32 v[24:25], v21 offset0:44 offset1:128
	ds_load_2addr_b32 v[28:29], v28 offset0:84 offset1:168
	;; [unrolled: 1-line block ×5, first 2 shown]
	ds_load_b32 v67, v21 offset:3536
.LBB0_27:
	s_or_b32 exec_lo, exec_lo, s1
	v_dual_add_f32 v62, v62, v70 :: v_dual_add_f32 v63, v63, v65
	v_dual_sub_f32 v42, v42, v54 :: v_dual_sub_f32 v41, v41, v45
	v_dual_add_f32 v54, v61, v64 :: v_dual_sub_f32 v43, v44, v43
	s_delay_alu instid0(VALU_DEP_3) | instskip(SKIP_2) | instid1(VALU_DEP_3)
	v_add_f32_e32 v44, v63, v62
	v_sub_f32_e32 v45, v63, v62
	s_waitcnt lgkmcnt(0)
	v_sub_f32_e32 v61, v62, v54
	v_dual_sub_f32 v62, v54, v63 :: v_dual_add_f32 v63, v43, v41
	v_add_f32_e32 v44, v54, v44
	v_dual_sub_f32 v54, v43, v41 :: v_dual_sub_f32 v43, v42, v43
	v_sub_f32_e32 v41, v41, v42
	s_delay_alu instid0(VALU_DEP_4) | instskip(SKIP_1) | instid1(VALU_DEP_4)
	v_dual_add_f32 v42, v63, v42 :: v_dual_mul_f32 v61, 0x3f4a47b2, v61
	v_mul_f32_e32 v63, 0x3d64c772, v62
	v_mul_f32_e32 v54, 0x3f08b237, v54
	v_add_f32_e32 v2, v2, v44
	v_mul_f32_e32 v64, 0xbf5ff5aa, v41
	v_fmamk_f32 v62, v62, 0x3d64c772, v61
	v_fma_f32 v63, 0x3f3bfb3b, v45, -v63
	v_fma_f32 v45, 0xbf3bfb3b, v45, -v61
	v_fmamk_f32 v61, v43, 0xbeae86e6, v54
	v_fma_f32 v41, 0xbf5ff5aa, v41, -v54
	s_barrier
	buffer_gl0_inv
	v_sub_f32_e32 v15, v15, v26
	v_fmac_f32_e32 v61, 0xbee1c552, v42
	v_fmamk_f32 v44, v44, 0xbf955555, v2
	v_fmac_f32_e32 v41, 0xbee1c552, v42
	v_sub_f32_e32 v14, v14, v18
	v_add_f32_e32 v1, v1, v38
	v_sub_f32_e32 v10, v11, v10
	v_add_f32_e32 v54, v62, v44
	v_add_f32_e32 v62, v63, v44
	v_sub_f32_e32 v9, v9, v12
	s_delay_alu instid0(VALU_DEP_3) | instskip(NEXT) | instid1(VALU_DEP_3)
	v_dual_sub_f32 v63, v54, v61 :: v_dual_add_f32 v44, v45, v44
	v_add_f32_e32 v65, v41, v62
	v_fma_f32 v43, 0x3eae86e6, v43, -v64
	s_delay_alu instid0(VALU_DEP_1) | instskip(SKIP_4) | instid1(VALU_DEP_2)
	v_dual_fmac_f32 v43, 0xbee1c552, v42 :: v_dual_sub_f32 v62, v62, v41
	v_add_f32_e32 v41, v58, v60
	v_add_f32_e32 v26, v57, v56
	;; [unrolled: 1-line block ×3, first 2 shown]
	v_sub_f32_e32 v16, v17, v16
	v_dual_sub_f32 v64, v44, v43 :: v_dual_add_f32 v17, v42, v41
	s_delay_alu instid0(VALU_DEP_1) | instskip(NEXT) | instid1(VALU_DEP_3)
	v_add_f32_e32 v17, v26, v17
	v_dual_sub_f32 v18, v42, v41 :: v_dual_add_f32 v45, v16, v14
	v_sub_f32_e32 v41, v41, v26
	s_delay_alu instid0(VALU_DEP_3)
	v_dual_sub_f32 v42, v26, v42 :: v_dual_add_f32 v3, v3, v17
	v_sub_f32_e32 v26, v16, v14
	v_sub_f32_e32 v16, v15, v16
	;; [unrolled: 1-line block ×3, first 2 shown]
	v_add_f32_e32 v15, v45, v15
	v_fmamk_f32 v17, v17, 0xbf955555, v3
	v_mul_f32_e32 v41, 0x3f4a47b2, v41
	s_delay_alu instid0(VALU_DEP_1) | instskip(SKIP_1) | instid1(VALU_DEP_2)
	v_dual_mul_f32 v45, 0x3d64c772, v42 :: v_dual_fmamk_f32 v42, v42, 0x3d64c772, v41
	v_mul_f32_e32 v55, 0xbf5ff5aa, v14
	v_fma_f32 v45, 0x3f3bfb3b, v18, -v45
	v_fma_f32 v18, 0xbf3bfb3b, v18, -v41
	v_mul_f32_e32 v26, 0x3f08b237, v26
	s_delay_alu instid0(VALU_DEP_1)
	v_dual_add_f32 v42, v42, v17 :: v_dual_fmamk_f32 v41, v16, 0xbeae86e6, v26
	v_fma_f32 v14, 0xbf5ff5aa, v14, -v26
	v_add_f32_e32 v26, v45, v17
	v_fma_f32 v16, 0x3eae86e6, v16, -v55
	v_add_f32_e32 v17, v18, v17
	v_dual_fmac_f32 v41, 0xbee1c552, v15 :: v_dual_add_f32 v18, v61, v54
	s_delay_alu instid0(VALU_DEP_3) | instskip(SKIP_1) | instid1(VALU_DEP_3)
	v_fmac_f32_e32 v16, 0xbee1c552, v15
	v_fmac_f32_e32 v14, 0xbee1c552, v15
	v_sub_f32_e32 v54, v42, v41
	v_dual_add_f32 v38, v41, v42 :: v_dual_add_f32 v15, v43, v44
	s_delay_alu instid0(VALU_DEP_3) | instskip(SKIP_4) | instid1(VALU_DEP_3)
	v_dual_sub_f32 v55, v17, v16 :: v_dual_add_f32 v56, v14, v26
	v_sub_f32_e32 v26, v26, v14
	v_add_f32_e32 v14, v19, v40
	v_dual_add_f32 v19, v27, v39 :: v_dual_sub_f32 v8, v8, v13
	v_add_f32_e32 v27, v16, v17
	v_sub_f32_e32 v13, v14, v1
	s_delay_alu instid0(VALU_DEP_3) | instskip(SKIP_2) | instid1(VALU_DEP_3)
	v_add_f32_e32 v11, v19, v14
	v_sub_f32_e32 v12, v19, v14
	v_dual_sub_f32 v14, v1, v19 :: v_dual_add_f32 v19, v10, v9
	v_add_f32_e32 v1, v1, v11
	v_dual_sub_f32 v11, v10, v9 :: v_dual_sub_f32 v10, v8, v10
	v_sub_f32_e32 v9, v9, v8
	s_delay_alu instid0(VALU_DEP_3) | instskip(SKIP_2) | instid1(VALU_DEP_4)
	v_dual_add_f32 v39, v0, v1 :: v_dual_add_f32 v8, v19, v8
	v_mul_f32_e32 v0, 0x3f4a47b2, v13
	v_mul_f32_e32 v13, 0x3d64c772, v14
	;; [unrolled: 1-line block ×3, first 2 shown]
	s_delay_alu instid0(VALU_DEP_4) | instskip(NEXT) | instid1(VALU_DEP_3)
	v_fmamk_f32 v1, v1, 0xbf955555, v39
	v_fma_f32 v13, 0x3f3bfb3b, v12, -v13
	v_fmamk_f32 v14, v14, 0x3d64c772, v0
	v_fma_f32 v0, 0xbf3bfb3b, v12, -v0
	s_delay_alu instid0(VALU_DEP_1) | instskip(NEXT) | instid1(VALU_DEP_1)
	v_dual_mul_f32 v11, 0x3f08b237, v11 :: v_dual_add_f32 v0, v0, v1
	v_fmamk_f32 v12, v10, 0xbeae86e6, v11
	v_fma_f32 v9, 0xbf5ff5aa, v9, -v11
	v_fma_f32 v10, 0x3eae86e6, v10, -v19
	s_delay_alu instid0(VALU_DEP_3) | instskip(NEXT) | instid1(VALU_DEP_3)
	v_dual_add_f32 v11, v14, v1 :: v_dual_fmac_f32 v12, 0xbee1c552, v8
	v_fmac_f32_e32 v9, 0xbee1c552, v8
	s_delay_alu instid0(VALU_DEP_2) | instskip(NEXT) | instid1(VALU_DEP_4)
	v_dual_sub_f32 v44, v11, v12 :: v_dual_add_f32 v13, v13, v1
	v_fmac_f32_e32 v10, 0xbee1c552, v8
	v_add_nc_u32_e32 v1, 0x800, v21
	v_add_f32_e32 v41, v12, v11
	s_delay_alu instid0(VALU_DEP_4) | instskip(NEXT) | instid1(VALU_DEP_4)
	v_sub_f32_e32 v43, v13, v9
	v_dual_sub_f32 v45, v0, v10 :: v_dual_add_f32 v42, v9, v13
	v_add_f32_e32 v40, v10, v0
	v_add_nc_u32_e32 v0, 0x400, v21
	ds_store_2addr_b32 v6, v2, v63 offset1:12
	ds_store_2addr_b32 v6, v64, v65 offset0:24 offset1:36
	ds_store_2addr_b32 v6, v62, v15 offset0:48 offset1:60
	ds_store_b32 v6, v18 offset:288
	ds_store_2addr_b32 v7, v3, v54 offset1:12
	ds_store_2addr_b32 v7, v55, v56 offset0:24 offset1:36
	ds_store_2addr_b32 v7, v26, v27 offset0:48 offset1:60
	ds_store_b32 v7, v38 offset:288
	;; [unrolled: 4-line block ×3, first 2 shown]
	s_waitcnt lgkmcnt(0)
	s_barrier
	buffer_gl0_inv
	ds_load_2addr_b32 v[54:55], v21 offset1:84
	ds_load_2addr_b32 v[62:63], v21 offset0:168 offset1:252
	ds_load_2addr_b32 v[58:59], v0 offset0:80 offset1:164
	ds_load_2addr_b32 v[60:61], v4 offset0:120 offset1:204
	ds_load_2addr_b32 v[64:65], v1 offset0:160 offset1:244
	ds_load_b32 v70, v21 offset:3360
	s_and_saveexec_b32 s1, s0
	s_cbranch_execz .LBB0_29
; %bb.28:
	v_add_nc_u32_e32 v2, 0x200, v21
	v_add_nc_u32_e32 v3, 0xa00, v21
	ds_load_2addr_b32 v[26:27], v21 offset0:44 offset1:128
	ds_load_2addr_b32 v[44:45], v0 offset0:124 offset1:208
	ds_load_2addr_b32 v[42:43], v1 offset0:36 offset1:120
	ds_load_2addr_b32 v[38:39], v2 offset0:84 offset1:168
	ds_load_2addr_b32 v[40:41], v3 offset0:76 offset1:160
	ds_load_b32 v68, v21 offset:3536
.LBB0_29:
	s_or_b32 exec_lo, exec_lo, s1
	s_and_saveexec_b32 s1, vcc_lo
	s_cbranch_execz .LBB0_32
; %bb.30:
	v_mul_u32_u24_e32 v0, 10, v20
	v_add_co_u32 v22, vcc_lo, s8, v22
	v_add_co_ci_u32_e32 v23, vcc_lo, s9, v23, vcc_lo
	s_delay_alu instid0(VALU_DEP_3)
	v_dual_mov_b32 v21, 0 :: v_dual_lshlrev_b32 v0, 3, v0
	s_clause 0x4
	global_load_b128 v[12:15], v0, s[4:5] offset:656
	global_load_b128 v[16:19], v0, s[4:5] offset:720
	;; [unrolled: 1-line block ×5, first 2 shown]
	v_lshlrev_b64 v[56:57], 3, v[20:21]
	s_delay_alu instid0(VALU_DEP_1) | instskip(NEXT) | instid1(VALU_DEP_2)
	v_add_co_u32 v22, vcc_lo, v22, v56
	v_add_co_ci_u32_e32 v23, vcc_lo, v23, v57, vcc_lo
	s_delay_alu instid0(VALU_DEP_2) | instskip(NEXT) | instid1(VALU_DEP_2)
	v_add_co_u32 v56, vcc_lo, 0x1000, v22
	v_add_co_ci_u32_e32 v57, vcc_lo, 0, v23, vcc_lo
	s_waitcnt vmcnt(3) lgkmcnt(0)
	v_dual_mul_f32 v71, v55, v13 :: v_dual_mul_f32 v72, v70, v19
	s_waitcnt vmcnt(1)
	v_dual_mul_f32 v13, v37, v13 :: v_dual_mul_f32 v76, v64, v11
	v_dual_mul_f32 v73, v62, v15 :: v_dual_mul_f32 v74, v65, v17
	s_waitcnt vmcnt(0)
	v_dual_mul_f32 v17, v53, v17 :: v_dual_mul_f32 v80, v60, v3
	v_dual_mul_f32 v15, v50, v15 :: v_dual_mul_f32 v78, v61, v9
	s_delay_alu instid0(VALU_DEP_3)
	v_dual_mul_f32 v11, v52, v11 :: v_dual_fmac_f32 v74, v53, v16
	v_fmac_f32_e32 v71, v37, v12
	v_fma_f32 v12, v55, v12, -v13
	v_fma_f32 v16, v65, v16, -v17
	;; [unrolled: 1-line block ×3, first 2 shown]
	v_mul_f32_e32 v3, v48, v3
	v_dual_mul_f32 v75, v63, v5 :: v_dual_fmac_f32 v72, v69, v18
	v_dual_mul_f32 v5, v51, v5 :: v_dual_fmac_f32 v78, v49, v8
	;; [unrolled: 1-line block ×3, first 2 shown]
	v_sub_f32_e32 v48, v13, v16
	v_fma_f32 v2, v60, v2, -v3
	v_mul_f32_e32 v79, v59, v1
	v_mul_f32_e32 v7, v46, v7
	v_dual_mul_f32 v19, v69, v19 :: v_dual_fmac_f32 v76, v52, v10
	v_fmac_f32_e32 v77, v46, v6
	s_delay_alu instid0(VALU_DEP_4)
	v_fmac_f32_e32 v79, v47, v0
	v_fmac_f32_e32 v73, v50, v14
	v_fma_f32 v14, v64, v10, -v11
	v_fmac_f32_e32 v75, v51, v4
	v_fma_f32 v4, v63, v4, -v5
	v_mul_f32_e32 v9, v49, v9
	v_mul_f32_e32 v1, v47, v1
	v_fma_f32 v37, v70, v18, -v19
	v_mul_f32_e32 v84, 0xbf4178ce, v48
	v_add_f32_e32 v10, v4, v14
	v_fma_f32 v5, v61, v8, -v9
	v_add_f32_e32 v8, v13, v16
	v_fma_f32 v6, v58, v6, -v7
	v_sub_f32_e32 v46, v12, v37
	v_dual_add_f32 v3, v12, v37 :: v_dual_add_f32 v12, v54, v12
	v_fma_f32 v0, v59, v0, -v1
	s_delay_alu instid0(VALU_DEP_4) | instskip(NEXT) | instid1(VALU_DEP_4)
	v_sub_f32_e32 v52, v6, v5
	v_dual_mul_f32 v64, 0xbf0a6770, v46 :: v_dual_sub_f32 v17, v79, v80
	v_dual_add_f32 v58, v79, v80 :: v_dual_sub_f32 v7, v73, v74
	v_dual_add_f32 v19, v71, v72 :: v_dual_mul_f32 v90, 0xbf7d64f0, v46
	s_delay_alu instid0(VALU_DEP_3) | instskip(SKIP_1) | instid1(VALU_DEP_4)
	v_mul_f32_e32 v82, 0x3f0a6770, v17
	v_sub_f32_e32 v50, v4, v14
	v_dual_mul_f32 v60, 0xbf68dda4, v7 :: v_dual_sub_f32 v11, v77, v78
	v_sub_f32_e32 v1, v71, v72
	v_dual_sub_f32 v9, v75, v76 :: v_dual_mul_f32 v70, 0xbf4178ce, v7
	v_add_f32_e32 v49, v36, v71
	s_delay_alu instid0(VALU_DEP_4) | instskip(NEXT) | instid1(VALU_DEP_4)
	v_mul_f32_e32 v62, 0xbf4178ce, v11
	v_dual_mul_f32 v59, 0xbf0a6770, v1 :: v_dual_mul_f32 v100, 0xbf0a6770, v50
	v_dual_add_f32 v47, v73, v74 :: v_dual_mul_f32 v92, 0xbf4178ce, v1
	v_sub_f32_e32 v55, v0, v2
	v_dual_mul_f32 v65, 0xbf68dda4, v48 :: v_dual_add_f32 v12, v12, v13
	v_mul_f32_e32 v88, 0xbf0a6770, v11
	v_mul_f32_e32 v63, 0xbe903f40, v17
	v_fmamk_f32 v109, v3, 0x3f575c64, v59
	v_fma_f32 v114, 0x3f575c64, v19, -v64
	v_fmac_f32_e32 v64, 0x3f575c64, v19
	v_mul_f32_e32 v83, 0xbf68dda4, v46
	v_fma_f32 v127, 0xbe11bafb, v19, -v90
	v_mul_f32_e32 v97, 0xbf4178ce, v46
	v_dual_mul_f32 v46, 0xbe903f40, v46 :: v_dual_add_f32 v15, v6, v5
	v_mul_f32_e32 v86, 0x3e903f40, v7
	v_add_f32_e32 v18, v0, v2
	v_dual_add_f32 v53, v77, v78 :: v_dual_mul_f32 v98, 0x3f7d64f0, v48
	v_dual_mul_f32 v61, 0xbf7d64f0, v9 :: v_dual_add_f32 v4, v12, v4
	v_mul_f32_e32 v85, 0xbf7d64f0, v1
	v_mul_f32_e32 v94, 0xbf0a6770, v9
	v_fma_f32 v120, 0x3ed4b147, v19, -v83
	v_mul_f32_e32 v93, 0x3f7d64f0, v7
	v_fmamk_f32 v129, v3, 0xbf27a4f4, v92
	v_mul_f32_e32 v91, 0x3e903f40, v48
	v_dual_mul_f32 v48, 0x3f0a6770, v48 :: v_dual_add_f32 v13, v49, v73
	v_mul_f32_e32 v106, 0x3f0a6770, v55
	v_mul_f32_e32 v69, 0xbf68dda4, v1
	v_fma_f32 v134, 0xbf75a155, v19, -v46
	v_mul_f32_e32 v1, 0xbe903f40, v1
	v_dual_add_f32 v51, v75, v76 :: v_dual_mul_f32 v96, 0x3f68dda4, v17
	v_dual_mul_f32 v81, 0x3f7d64f0, v11 :: v_dual_mul_f32 v102, 0x3f7d64f0, v52
	v_mul_f32_e32 v87, 0x3f68dda4, v9
	v_mul_f32_e32 v89, 0xbf4178ce, v17
	v_dual_mul_f32 v95, 0xbe903f40, v11 :: v_dual_mul_f32 v104, 0xbe903f40, v52
	v_mul_f32_e32 v11, 0x3f68dda4, v11
	v_dual_mul_f32 v17, 0xbf7d64f0, v17 :: v_dual_add_f32 v4, v4, v6
	v_dual_mul_f32 v99, 0x3f68dda4, v50 :: v_dual_mul_f32 v108, 0x3f68dda4, v55
	v_dual_fmamk_f32 v111, v10, 0xbe11bafb, v61 :: v_dual_fmac_f32 v90, 0xbe11bafb, v19
	v_fmamk_f32 v112, v15, 0xbf27a4f4, v62
	v_dual_fmamk_f32 v113, v18, 0xbf75a155, v63 :: v_dual_fmac_f32 v46, 0xbf75a155, v19
	v_mul_f32_e32 v7, 0x3f0a6770, v7
	v_dual_fmamk_f32 v123, v8, 0xbf75a155, v86 :: v_dual_fmamk_f32 v132, v3, 0xbf75a155, v1
	v_fmamk_f32 v122, v3, 0xbe11bafb, v85
	v_fmamk_f32 v130, v8, 0xbe11bafb, v93
	v_mul_f32_e32 v107, 0xbf4178ce, v55
	v_fma_f32 v1, 0xbf75a155, v3, -v1
	v_fma_f32 v92, 0xbf27a4f4, v3, -v92
	v_mul_f32_e32 v71, 0x3e903f40, v9
	v_dual_mul_f32 v9, 0xbf4178ce, v9 :: v_dual_add_f32 v90, v36, v90
	v_fma_f32 v133, 0xbf27a4f4, v19, -v97
	v_fmac_f32_e32 v97, 0xbf27a4f4, v19
	v_fma_f32 v137, 0x3ed4b147, v47, -v65
	v_dual_mul_f32 v73, 0x3e903f40, v50 :: v_dual_add_f32 v12, v13, v75
	v_mul_f32_e32 v49, 0xbf7d64f0, v50
	v_mul_f32_e32 v50, 0xbf4178ce, v50
	v_dual_fmamk_f32 v110, v8, 0x3ed4b147, v60 :: v_dual_fmamk_f32 v115, v3, 0x3ed4b147, v69
	v_mul_f32_e32 v101, 0xbf4178ce, v52
	v_fmamk_f32 v116, v8, 0xbf27a4f4, v70
	v_fmamk_f32 v118, v15, 0xbe11bafb, v81
	v_fma_f32 v121, 0xbf27a4f4, v47, -v84
	v_mul_f32_e32 v103, 0xbf0a6770, v52
	v_mul_f32_e32 v52, 0x3f68dda4, v52
	v_fmamk_f32 v124, v10, 0x3ed4b147, v87
	v_dual_fmamk_f32 v126, v18, 0xbf27a4f4, v89 :: v_dual_add_f32 v97, v36, v97
	v_fma_f32 v128, 0xbf75a155, v47, -v91
	v_fma_f32 v85, 0xbe11bafb, v3, -v85
	;; [unrolled: 1-line block ×4, first 2 shown]
	v_fmac_f32_e32 v83, 0x3ed4b147, v19
	v_fma_f32 v135, 0xbe11bafb, v47, -v98
	v_fmamk_f32 v131, v10, 0x3f575c64, v94
	v_fma_f32 v93, 0xbe11bafb, v8, -v93
	v_fma_f32 v86, 0xbf75a155, v8, -v86
	;; [unrolled: 1-line block ×7, first 2 shown]
	v_fmac_f32_e32 v84, 0xbf27a4f4, v47
	v_dual_fmac_f32 v65, 0x3ed4b147, v47 :: v_dual_add_f32 v0, v4, v0
	v_fmac_f32_e32 v91, 0xbf75a155, v47
	v_fmamk_f32 v59, v15, 0xbf75a155, v95
	v_fma_f32 v95, 0xbf75a155, v15, -v95
	v_fma_f32 v145, 0xbf27a4f4, v53, -v101
	v_fmac_f32_e32 v101, 0xbf27a4f4, v53
	v_mul_f32_e32 v105, 0xbe903f40, v55
	v_fma_f32 v75, 0xbf27a4f4, v58, -v107
	v_fmac_f32_e32 v107, 0xbf27a4f4, v58
	v_fmamk_f32 v19, v18, 0x3ed4b147, v96
	v_fma_f32 v96, 0x3ed4b147, v18, -v96
	v_add_f32_e32 v1, v54, v1
	v_dual_add_f32 v92, v54, v92 :: v_dual_mul_f32 v55, 0xbf7d64f0, v55
	v_fmamk_f32 v117, v10, 0xbf75a155, v71
	v_fma_f32 v71, 0xbf75a155, v10, -v71
	v_fmac_f32_e32 v98, 0xbe11bafb, v47
	v_fmamk_f32 v125, v15, 0x3f575c64, v88
	v_fma_f32 v88, 0x3f575c64, v15, -v88
	v_dual_add_f32 v46, v36, v46 :: v_dual_fmamk_f32 v119, v18, 0x3f575c64, v82
	v_fmamk_f32 v136, v8, 0x3f575c64, v7
	v_fma_f32 v7, 0x3f575c64, v8, -v7
	v_fma_f32 v8, 0x3ed4b147, v8, -v60
	v_fmamk_f32 v60, v10, 0xbf27a4f4, v9
	v_fma_f32 v9, 0xbf27a4f4, v10, -v9
	v_fma_f32 v10, 0xbe11bafb, v10, -v61
	;; [unrolled: 3-line block ×4, first 2 shown]
	v_fma_f32 v18, 0xbf75a155, v18, -v63
	v_fma_f32 v63, 0x3f575c64, v47, -v48
	v_fmac_f32_e32 v48, 0x3f575c64, v47
	v_fma_f32 v47, 0xbf27a4f4, v51, -v50
	v_fmac_f32_e32 v50, 0xbf27a4f4, v51
	v_fma_f32 v138, 0x3f575c64, v51, -v100
	v_dual_fmac_f32 v100, 0x3f575c64, v51 :: v_dual_add_f32 v85, v54, v85
	v_fma_f32 v139, 0x3ed4b147, v51, -v99
	v_fma_f32 v140, 0xbf75a155, v51, -v73
	;; [unrolled: 1-line block ×3, first 2 shown]
	v_dual_fmac_f32 v104, 0xbf75a155, v53 :: v_dual_fmac_f32 v73, 0xbf75a155, v51
	v_fma_f32 v143, 0x3f575c64, v53, -v103
	v_fmac_f32_e32 v103, 0x3f575c64, v53
	v_fma_f32 v144, 0xbe11bafb, v53, -v102
	v_fmac_f32_e32 v102, 0xbe11bafb, v53
	v_fma_f32 v146, 0x3f575c64, v58, -v106
	v_dual_fmac_f32 v106, 0x3f575c64, v58 :: v_dual_add_f32 v69, v54, v69
	v_fma_f32 v147, 0xbf75a155, v58, -v105
	v_dual_add_f32 v3, v54, v3 :: v_dual_add_f32 v6, v12, v77
	v_fma_f32 v141, 0xbe11bafb, v51, -v49
	v_fmac_f32_e32 v99, 0x3ed4b147, v51
	v_fmac_f32_e32 v49, 0xbe11bafb, v51
	v_fma_f32 v51, 0x3ed4b147, v53, -v52
	v_fmac_f32_e32 v52, 0x3ed4b147, v53
	v_fma_f32 v53, 0x3ed4b147, v58, -v108
	v_fmac_f32_e32 v108, 0x3ed4b147, v58
	v_dual_fmac_f32 v105, 0xbf75a155, v58 :: v_dual_add_f32 v4, v6, v79
	v_add_f32_e32 v1, v1, v7
	v_dual_add_f32 v7, v46, v48 :: v_dual_add_f32 v46, v92, v93
	v_fma_f32 v13, 0xbe11bafb, v58, -v55
	v_dual_fmac_f32 v55, 0xbe11bafb, v58 :: v_dual_add_f32 v58, v54, v109
	v_add_f32_e32 v109, v54, v115
	v_add_f32_e32 v115, v54, v122
	;; [unrolled: 1-line block ×3, first 2 shown]
	v_dual_add_f32 v129, v54, v132 :: v_dual_add_f32 v54, v36, v114
	v_add_f32_e32 v114, v36, v120
	v_add_f32_e32 v120, v36, v127
	v_add_f32_e32 v127, v36, v133
	v_add_f32_e32 v132, v36, v134
	v_add_f32_e32 v83, v36, v83
	v_add_f32_e32 v36, v36, v64
	v_add_f32_e32 v12, v58, v110
	v_add_f32_e32 v54, v54, v137
	v_add_f32_e32 v58, v109, v116
	v_add_f32_e32 v64, v114, v121
	v_add_f32_e32 v110, v122, v130
	v_dual_add_f32 v48, v97, v98 :: v_dual_add_f32 v77, v115, v123
	v_dual_add_f32 v115, v129, v136 :: v_dual_add_f32 v6, v12, v111
	v_add_f32_e32 v114, v127, v135
	v_dual_add_f32 v12, v54, v141 :: v_dual_add_f32 v85, v85, v86
	v_add_f32_e32 v109, v120, v128
	v_add_f32_e32 v54, v64, v140
	v_dual_add_f32 v3, v3, v8 :: v_dual_add_f32 v0, v0, v2
	v_add_f32_e32 v8, v36, v65
	v_dual_add_f32 v86, v90, v91 :: v_dual_add_f32 v69, v69, v70
	;; [unrolled: 2-line block ×3, first 2 shown]
	v_dual_add_f32 v60, v115, v60 :: v_dual_add_f32 v1, v1, v9
	v_dual_add_f32 v9, v46, v94 :: v_dual_add_f32 v46, v48, v100
	;; [unrolled: 1-line block ×4, first 2 shown]
	v_add_f32_e32 v48, v85, v87
	v_add_f32_e32 v64, v109, v139
	s_delay_alu instid0(VALU_DEP_4)
	v_dual_add_f32 v47, v63, v47 :: v_dual_add_f32 v4, v6, v112
	v_dual_add_f32 v7, v7, v50 :: v_dual_add_f32 v8, v8, v49
	;; [unrolled: 1-line block ×3, first 2 shown]
	v_add_f32_e32 v12, v54, v144
	v_dual_add_f32 v54, v65, v59 :: v_dual_add_f32 v3, v3, v10
	v_add_f32_e32 v50, v86, v99
	v_dual_add_f32 v69, v70, v73 :: v_dual_add_f32 v10, v36, v118
	;; [unrolled: 2-line block ×3, first 2 shown]
	v_dual_add_f32 v46, v46, v104 :: v_dual_add_f32 v59, v60, v61
	v_add_f32_e32 v50, v50, v103
	v_dual_add_f32 v47, v47, v51 :: v_dual_add_f32 v48, v48, v88
	v_dual_add_f32 v11, v1, v11 :: v_dual_add_f32 v60, v63, v81
	v_dual_add_f32 v51, v7, v52 :: v_dual_add_f32 v64, v8, v101
	v_add_f32_e32 v52, v9, v95
	v_add_f32_e32 v63, v3, v15
	;; [unrolled: 1-line block ×4, first 2 shown]
	v_dual_add_f32 v61, v69, v102 :: v_dual_add_f32 v0, v6, v147
	v_add_f32_e32 v1, v4, v113
	v_dual_add_f32 v5, v36, v126 :: v_dual_add_f32 v4, v49, v75
	s_delay_alu instid0(VALU_DEP_4)
	v_dual_add_f32 v7, v54, v19 :: v_dual_add_f32 v36, v76, v65
	v_add_f32_e32 v6, v58, v53
	v_add_f32_e32 v19, v14, v15
	v_dual_add_f32 v3, v10, v119 :: v_dual_add_f32 v8, v47, v13
	v_dual_add_f32 v2, v12, v146 :: v_dual_add_f32 v11, v11, v17
	v_add_f32_e32 v13, v52, v96
	v_dual_add_f32 v12, v46, v108 :: v_dual_add_f32 v15, v48, v89
	v_add_f32_e32 v36, v74, v36
	v_add_f32_e32 v46, v16, v19
	;; [unrolled: 1-line block ×3, first 2 shown]
	v_dual_add_f32 v9, v59, v62 :: v_dual_add_f32 v14, v50, v107
	v_add_f32_e32 v17, v60, v82
	v_add_f32_e32 v16, v61, v106
	v_dual_add_f32 v19, v63, v18 :: v_dual_add_f32 v36, v72, v36
	v_dual_add_f32 v18, v64, v105 :: v_dual_add_f32 v37, v37, v46
	s_clause 0xa
	global_store_b64 v[22:23], v[12:13], off offset:2688
	global_store_b64 v[22:23], v[10:11], off offset:3360
	;; [unrolled: 1-line block ×7, first 2 shown]
	global_store_b64 v[22:23], v[36:37], off
	global_store_b64 v[56:57], v[4:5], off offset:1280
	global_store_b64 v[56:57], v[2:3], off offset:1952
	;; [unrolled: 1-line block ×3, first 2 shown]
	s_and_b32 exec_lo, exec_lo, s0
	s_cbranch_execz .LBB0_32
; %bb.31:
	v_subrev_nc_u32_e32 v0, 40, v20
	s_delay_alu instid0(VALU_DEP_1) | instskip(NEXT) | instid1(VALU_DEP_1)
	v_cndmask_b32_e64 v0, v0, v66, s0
	v_mul_i32_i24_e32 v20, 10, v0
	s_delay_alu instid0(VALU_DEP_1) | instskip(NEXT) | instid1(VALU_DEP_1)
	v_lshlrev_b64 v[0:1], 3, v[20:21]
	v_add_co_u32 v0, vcc_lo, s4, v0
	s_delay_alu instid0(VALU_DEP_2)
	v_add_co_ci_u32_e32 v1, vcc_lo, s5, v1, vcc_lo
	s_clause 0x4
	global_load_b128 v[4:7], v[0:1], off offset:656
	global_load_b128 v[8:11], v[0:1], off offset:672
	global_load_b128 v[12:15], v[0:1], off offset:688
	global_load_b128 v[16:19], v[0:1], off offset:704
	global_load_b128 v[46:49], v[0:1], off offset:720
	s_waitcnt vmcnt(4)
	v_dual_mul_f32 v20, v27, v5 :: v_dual_mul_f32 v21, v38, v7
	v_dual_mul_f32 v3, v25, v5 :: v_dual_mul_f32 v36, v28, v7
	s_waitcnt vmcnt(3)
	v_dual_mul_f32 v50, v29, v9 :: v_dual_mul_f32 v51, v44, v11
	s_delay_alu instid0(VALU_DEP_3) | instskip(NEXT) | instid1(VALU_DEP_3)
	v_dual_mul_f32 v11, v34, v11 :: v_dual_fmac_f32 v20, v25, v4
	v_fma_f32 v25, v27, v4, -v3
	s_waitcnt vmcnt(0)
	v_mul_f32_e32 v1, v68, v49
	v_fmac_f32_e32 v51, v34, v10
	v_fma_f32 v10, v44, v10, -v11
	v_mul_f32_e32 v49, v67, v49
	v_dual_mul_f32 v37, v39, v9 :: v_dual_mul_f32 v2, v40, v19
	v_mul_f32_e32 v9, v45, v13
	v_dual_mul_f32 v13, v35, v13 :: v_dual_mul_f32 v0, v41, v47
	s_delay_alu instid0(VALU_DEP_4) | instskip(SKIP_4) | instid1(VALU_DEP_4)
	v_fma_f32 v3, v68, v48, -v49
	v_mul_f32_e32 v5, v43, v17
	v_mul_f32_e32 v7, v42, v15
	;; [unrolled: 1-line block ×3, first 2 shown]
	v_fma_f32 v27, v38, v6, -v36
	v_dual_fmac_f32 v2, v30, v18 :: v_dual_fmac_f32 v5, v33, v16
	v_fmac_f32_e32 v37, v29, v8
	v_fmac_f32_e32 v21, v28, v6
	v_fma_f32 v28, v39, v8, -v50
	v_fmac_f32_e32 v9, v35, v12
	v_dual_sub_f32 v36, v51, v5 :: v_dual_mul_f32 v19, v30, v19
	v_dual_add_f32 v30, v37, v2 :: v_dual_mul_f32 v47, v31, v47
	v_fma_f32 v11, v45, v12, -v13
	v_fma_f32 v12, v42, v14, -v15
	s_delay_alu instid0(VALU_DEP_4)
	v_fma_f32 v6, v40, v18, -v19
	v_fmac_f32_e32 v0, v31, v46
	v_fmac_f32_e32 v7, v32, v14
	v_sub_f32_e32 v32, v37, v2
	v_sub_f32_e32 v42, v11, v12
	v_fma_f32 v4, v41, v46, -v47
	v_mul_f32_e32 v17, v33, v17
	v_add_f32_e32 v14, v26, v25
	v_sub_f32_e32 v18, v25, v3
	v_add_f32_e32 v40, v11, v12
	v_add_f32_e32 v34, v51, v5
	v_fma_f32 v8, v43, v16, -v17
	v_dual_add_f32 v16, v25, v3 :: v_dual_sub_f32 v33, v28, v6
	v_sub_f32_e32 v29, v27, v4
	s_delay_alu instid0(VALU_DEP_3) | instskip(SKIP_1) | instid1(VALU_DEP_4)
	v_dual_add_f32 v31, v28, v6 :: v_dual_sub_f32 v38, v10, v8
	v_add_f32_e32 v14, v14, v27
	v_dual_mul_f32 v62, 0x3e903f40, v33 :: v_dual_fmac_f32 v1, v67, v48
	s_delay_alu instid0(VALU_DEP_4) | instskip(SKIP_2) | instid1(VALU_DEP_4)
	v_dual_mul_f32 v52, 0xbf4178ce, v29 :: v_dual_add_f32 v13, v24, v20
	v_dual_mul_f32 v54, 0x3e903f40, v29 :: v_dual_add_f32 v19, v21, v0
	v_mul_f32_e32 v58, 0x3f7d64f0, v29
	v_dual_add_f32 v15, v20, v1 :: v_dual_mul_f32 v44, 0x3ed4b147, v16
	v_dual_sub_f32 v17, v20, v1 :: v_dual_mul_f32 v46, 0xbe11bafb, v16
	v_dual_add_f32 v20, v27, v4 :: v_dual_add_f32 v13, v13, v21
	v_mul_f32_e32 v68, 0xbf4178ce, v38
	v_mul_f32_e32 v27, 0x3f575c64, v16
	v_dual_mul_f32 v43, 0xbf68dda4, v18 :: v_dual_add_f32 v14, v14, v28
	v_mul_f32_e32 v45, 0xbf7d64f0, v18
	v_mul_f32_e32 v48, 0xbf27a4f4, v16
	;; [unrolled: 1-line block ×4, first 2 shown]
	v_dual_sub_f32 v25, v21, v0 :: v_dual_mul_f32 v60, 0xbf7d64f0, v33
	v_dual_mul_f32 v21, 0xbf0a6770, v18 :: v_dual_mul_f32 v66, 0xbf0a6770, v33
	v_dual_mul_f32 v18, 0xbe903f40, v18 :: v_dual_add_f32 v35, v10, v8
	v_mul_f32_e32 v64, 0x3f68dda4, v33
	v_dual_mul_f32 v49, 0xbf68dda4, v29 :: v_dual_add_f32 v10, v14, v10
	s_delay_alu instid0(VALU_DEP_3) | instskip(SKIP_2) | instid1(VALU_DEP_3)
	v_dual_mul_f32 v55, 0xbf75a155, v20 :: v_dual_fmamk_f32 v90, v15, 0xbf75a155, v18
	v_dual_mul_f32 v29, 0x3f0a6770, v29 :: v_dual_mul_f32 v78, 0x3f0a6770, v42
	v_dual_mul_f32 v65, 0x3ed4b147, v31 :: v_dual_fmamk_f32 v84, v15, 0x3ed4b147, v43
	v_dual_mul_f32 v74, 0xbe903f40, v38 :: v_dual_fmamk_f32 v95, v25, 0xbe903f40, v55
	v_fmamk_f32 v28, v15, 0x3f575c64, v21
	v_fma_f32 v21, 0x3f575c64, v15, -v21
	v_fma_f32 v43, 0x3ed4b147, v15, -v43
	v_fmamk_f32 v87, v17, 0x3f7d64f0, v46
	v_fmac_f32_e32 v46, 0xbf7d64f0, v17
	v_add_f32_e32 v14, v24, v28
	v_dual_mul_f32 v59, 0xbe11bafb, v20 :: v_dual_fmamk_f32 v86, v15, 0xbe11bafb, v45
	v_fma_f32 v45, 0xbe11bafb, v15, -v45
	v_fmamk_f32 v89, v17, 0x3f4178ce, v48
	v_fmac_f32_e32 v48, 0xbf4178ce, v17
	v_dual_mul_f32 v53, 0xbf27a4f4, v20 :: v_dual_fmamk_f32 v88, v15, 0xbf27a4f4, v47
	v_fma_f32 v47, 0xbf27a4f4, v15, -v47
	v_fma_f32 v15, 0xbf75a155, v15, -v18
	v_dual_add_f32 v39, v9, v7 :: v_dual_mul_f32 v50, 0x3ed4b147, v20
	v_dual_sub_f32 v41, v9, v7 :: v_dual_mul_f32 v20, 0x3f575c64, v20
	v_mul_f32_e32 v61, 0xbe11bafb, v31
	v_dual_mul_f32 v63, 0xbf75a155, v31 :: v_dual_fmamk_f32 v94, v19, 0xbf75a155, v54
	v_dual_mul_f32 v67, 0x3f575c64, v31 :: v_dual_fmamk_f32 v98, v19, 0x3f575c64, v29
	v_dual_mul_f32 v33, 0xbf4178ce, v33 :: v_dual_mul_f32 v80, 0xbf4178ce, v42
	v_dual_mul_f32 v31, 0xbf27a4f4, v31 :: v_dual_fmamk_f32 v92, v19, 0xbf27a4f4, v52
	v_dual_mul_f32 v70, 0x3f7d64f0, v38 :: v_dual_add_f32 v13, v13, v37
	v_dual_mul_f32 v71, 0xbe11bafb, v35 :: v_dual_fmamk_f32 v96, v19, 0xbe11bafb, v58
	v_mul_f32_e32 v72, 0xbf0a6770, v38
	v_dual_mul_f32 v75, 0xbf75a155, v35 :: v_dual_fmamk_f32 v100, v30, 0xbf75a155, v62
	v_dual_mul_f32 v38, 0x3f68dda4, v38 :: v_dual_fmamk_f32 v85, v17, 0x3f68dda4, v44
	;; [unrolled: 1-line block ×3, first 2 shown]
	v_fmamk_f32 v37, v17, 0x3f0a6770, v27
	v_fmac_f32_e32 v27, 0xbf0a6770, v17
	v_dual_fmac_f32 v44, 0xbf68dda4, v17 :: v_dual_fmamk_f32 v103, v32, 0xbf68dda4, v65
	v_fmamk_f32 v91, v17, 0x3e903f40, v16
	v_fmac_f32_e32 v16, 0xbe903f40, v17
	v_fmamk_f32 v17, v19, 0x3ed4b147, v49
	v_fma_f32 v49, 0x3ed4b147, v19, -v49
	v_fma_f32 v52, 0xbf27a4f4, v19, -v52
	;; [unrolled: 1-line block ×6, first 2 shown]
	v_add_f32_e32 v15, v24, v15
	v_dual_mul_f32 v69, 0xbf27a4f4, v35 :: v_dual_fmamk_f32 v106, v30, 0xbf27a4f4, v33
	v_dual_mul_f32 v73, 0x3f575c64, v35 :: v_dual_fmamk_f32 v104, v30, 0x3f575c64, v66
	;; [unrolled: 1-line block ×4, first 2 shown]
	v_dual_mul_f32 v82, 0x3f68dda4, v42 :: v_dual_fmac_f32 v65, 0x3f68dda4, v32
	v_dual_mul_f32 v42, 0xbf7d64f0, v42 :: v_dual_fmamk_f32 v97, v25, 0xbf7d64f0, v59
	v_fmamk_f32 v18, v25, 0x3f68dda4, v50
	v_dual_fmac_f32 v50, 0xbf68dda4, v25 :: v_dual_fmamk_f32 v115, v36, 0xbf68dda4, v35
	v_dual_fmamk_f32 v93, v25, 0x3f4178ce, v53 :: v_dual_add_f32 v46, v26, v46
	v_fmac_f32_e32 v53, 0xbf4178ce, v25
	v_dual_fmac_f32 v55, 0x3e903f40, v25 :: v_dual_add_f32 v48, v26, v48
	v_fmac_f32_e32 v59, 0x3f7d64f0, v25
	v_fma_f32 v62, 0xbf75a155, v30, -v62
	v_fma_f32 v64, 0x3ed4b147, v30, -v64
	;; [unrolled: 1-line block ×3, first 2 shown]
	v_dual_fmamk_f32 v108, v34, 0xbe11bafb, v70 :: v_dual_add_f32 v13, v13, v51
	v_fmamk_f32 v113, v36, 0x3e903f40, v75
	v_fmac_f32_e32 v75, 0xbe903f40, v36
	v_dual_fmamk_f32 v99, v25, 0xbf0a6770, v20 :: v_dual_add_f32 v16, v26, v16
	v_fmac_f32_e32 v20, 0x3f0a6770, v25
	v_dual_fmamk_f32 v116, v39, 0x3f575c64, v78 :: v_dual_add_f32 v21, v24, v21
	v_fmamk_f32 v25, v30, 0xbe11bafb, v60
	v_fma_f32 v60, 0xbe11bafb, v30, -v60
	v_fma_f32 v30, 0xbf27a4f4, v30, -v33
	v_fmamk_f32 v118, v39, 0xbf27a4f4, v80
	v_dual_add_f32 v28, v26, v37 :: v_dual_add_f32 v37, v24, v84
	v_add_f32_e32 v15, v19, v15
	v_fmac_f32_e32 v63, 0x3e903f40, v32
	v_fmamk_f32 v33, v36, 0x3f4178ce, v69
	v_fmac_f32_e32 v69, 0xbf4178ce, v36
	v_fmamk_f32 v109, v36, 0xbf7d64f0, v71
	;; [unrolled: 2-line block ×3, first 2 shown]
	v_fmac_f32_e32 v35, 0x3f68dda4, v36
	v_fma_f32 v78, 0x3f575c64, v39, -v78
	v_fma_f32 v80, 0xbf27a4f4, v39, -v80
	v_fmamk_f32 v120, v39, 0x3ed4b147, v82
	v_fma_f32 v82, 0x3ed4b147, v39, -v82
	v_dual_fmamk_f32 v122, v39, 0xbe11bafb, v42 :: v_dual_add_f32 v51, v26, v87
	v_add_f32_e32 v27, v26, v27
	v_add_f32_e32 v15, v30, v15
	;; [unrolled: 1-line block ×3, first 2 shown]
	v_dual_add_f32 v13, v18, v28 :: v_dual_add_f32 v18, v92, v37
	v_fmac_f32_e32 v73, 0xbf0a6770, v36
	v_fmamk_f32 v36, v39, 0xbf75a155, v76
	v_fma_f32 v76, 0xbf75a155, v39, -v76
	v_fma_f32 v39, 0xbe11bafb, v39, -v42
	v_dual_add_f32 v42, v24, v43 :: v_dual_add_f32 v43, v26, v44
	v_dual_add_f32 v44, v24, v86 :: v_dual_mul_f32 v79, 0x3f575c64, v40
	v_fmamk_f32 v110, v34, 0x3f575c64, v72
	v_mul_f32_e32 v81, 0xbf27a4f4, v40
	v_dual_mul_f32 v83, 0x3ed4b147, v40 :: v_dual_fmamk_f32 v114, v34, 0x3ed4b147, v38
	v_mul_f32_e32 v40, 0xbe11bafb, v40
	v_dual_fmamk_f32 v29, v32, 0x3f7d64f0, v61 :: v_dual_add_f32 v10, v10, v11
	v_add_f32_e32 v11, v17, v14
	v_add_f32_e32 v17, v50, v27
	;; [unrolled: 1-line block ×3, first 2 shown]
	v_fmac_f32_e32 v61, 0xbf7d64f0, v32
	v_dual_fmamk_f32 v107, v32, 0x3f4178ce, v31 :: v_dual_add_f32 v28, v95, v51
	v_fma_f32 v70, 0xbe11bafb, v34, -v70
	v_fma_f32 v72, 0x3f575c64, v34, -v72
	v_dual_fmamk_f32 v117, v41, 0xbf0a6770, v79 :: v_dual_add_f32 v16, v20, v16
	v_add_f32_e32 v84, v24, v88
	v_fmamk_f32 v105, v32, 0x3f0a6770, v67
	v_dual_fmac_f32 v67, 0xbf0a6770, v32 :: v_dual_add_f32 v20, v102, v27
	v_add_f32_e32 v47, v24, v47
	v_fmac_f32_e32 v31, 0xbf4178ce, v32
	v_fmamk_f32 v32, v34, 0xbf27a4f4, v68
	v_fma_f32 v68, 0xbf27a4f4, v34, -v68
	v_fma_f32 v34, 0x3ed4b147, v34, -v38
	v_add_f32_e32 v45, v24, v45
	v_add_f32_e32 v86, v24, v90
	;; [unrolled: 1-line block ×4, first 2 shown]
	v_fmamk_f32 v38, v41, 0x3e903f40, v77
	v_dual_fmac_f32 v77, 0xbe903f40, v41 :: v_dual_add_f32 v42, v96, v84
	v_dual_fmac_f32 v79, 0x3f0a6770, v41 :: v_dual_add_f32 v30, v34, v15
	v_add_f32_e32 v7, v9, v7
	v_dual_add_f32 v9, v10, v12 :: v_dual_add_f32 v10, v25, v11
	v_add_f32_e32 v12, v60, v14
	v_add_f32_e32 v14, v100, v18
	s_delay_alu instid0(VALU_DEP_4)
	v_dual_add_f32 v18, v62, v24 :: v_dual_add_f32 v5, v7, v5
	v_fmamk_f32 v121, v41, 0xbf68dda4, v83
	v_fmac_f32_e32 v83, 0x3f68dda4, v41
	v_fmamk_f32 v123, v41, 0x3f7d64f0, v40
	v_dual_fmac_f32 v40, 0xbf7d64f0, v41 :: v_dual_add_f32 v7, v9, v8
	v_add_f32_e32 v8, v32, v10
	v_add_f32_e32 v10, v68, v12
	;; [unrolled: 1-line block ×5, first 2 shown]
	v_dual_fmamk_f32 v119, v41, 0x3f4178ce, v81 :: v_dual_add_f32 v18, v110, v20
	v_dual_add_f32 v44, v58, v47 :: v_dual_fmac_f32 v81, 0xbf4178ce, v41
	v_dual_add_f32 v16, v31, v16 :: v_dual_add_f32 v41, v26, v85
	v_add_f32_e32 v2, v5, v2
	v_add_f32_e32 v11, v29, v13
	v_dual_add_f32 v87, v26, v91 :: v_dual_add_f32 v24, v64, v37
	v_add_f32_e32 v85, v26, v89
	v_add_f32_e32 v21, v93, v41
	v_dual_add_f32 v26, v53, v43 :: v_dual_add_f32 v41, v55, v46
	v_add_f32_e32 v46, v98, v86
	v_dual_add_f32 v0, v2, v0 :: v_dual_add_f32 v9, v33, v11
	s_delay_alu instid0(VALU_DEP_3) | instskip(SKIP_1) | instid1(VALU_DEP_3)
	v_add_f32_e32 v19, v63, v26
	v_add_f32_e32 v26, v104, v42
	v_dual_add_f32 v37, v106, v46 :: v_dual_add_f32 v0, v0, v1
	v_dual_add_f32 v32, v7, v6 :: v_dual_add_f32 v13, v61, v17
	v_add_f32_e32 v17, v101, v21
	v_add_f32_e32 v21, v103, v28
	;; [unrolled: 1-line block ×3, first 2 shown]
	s_delay_alu instid0(VALU_DEP_4)
	v_add_f32_e32 v2, v32, v4
	v_add_f32_e32 v6, v38, v9
	;; [unrolled: 1-line block ×5, first 2 shown]
	v_dual_add_f32 v17, v71, v19 :: v_dual_add_f32 v20, v72, v24
	v_add_f32_e32 v24, v112, v26
	v_add_f32_e32 v26, v74, v28
	;; [unrolled: 1-line block ×8, first 2 shown]
	v_dual_add_f32 v9, v116, v12 :: v_dual_add_f32 v12, v79, v17
	v_add_f32_e32 v17, v120, v24
	v_dual_add_f32 v24, v122, v28 :: v_dual_add_f32 v27, v105, v43
	v_dual_add_f32 v31, v35, v16 :: v_dual_add_f32 v16, v81, v21
	v_add_f32_e32 v41, v107, v47
	v_dual_add_f32 v7, v76, v10 :: v_dual_add_f32 v10, v117, v13
	v_add_f32_e32 v29, v67, v45
	v_add_f32_e32 v25, v113, v27
	;; [unrolled: 1-line block ×3, first 2 shown]
	v_dual_add_f32 v5, v36, v8 :: v_dual_add_f32 v8, v77, v11
	s_delay_alu instid0(VALU_DEP_4) | instskip(SKIP_3) | instid1(VALU_DEP_3)
	v_add_f32_e32 v27, v75, v29
	v_add_f32_e32 v29, v115, v41
	v_dual_add_f32 v18, v121, v25 :: v_dual_add_f32 v11, v78, v14
	v_dual_add_f32 v14, v119, v19 :: v_dual_add_f32 v15, v80, v20
	v_add_f32_e32 v25, v123, v29
	v_dual_add_f32 v19, v82, v26 :: v_dual_add_f32 v20, v83, v27
	v_dual_add_f32 v26, v39, v30 :: v_dual_add_f32 v27, v40, v31
	v_add_f32_e32 v1, v2, v3
	s_clause 0xa
	global_store_b64 v[22:23], v[17:18], off offset:3040
	global_store_b64 v[22:23], v[24:25], off offset:3712
	;; [unrolled: 1-line block ×11, first 2 shown]
.LBB0_32:
	s_nop 0
	s_sendmsg sendmsg(MSG_DEALLOC_VGPRS)
	s_endpgm
	.section	.rodata,"a",@progbits
	.p2align	6, 0x0
	.amdhsa_kernel fft_rtc_back_len924_factors_2_2_3_7_11_wgs_44_tpt_44_halfLds_sp_ip_CI_unitstride_sbrr_dirReg
		.amdhsa_group_segment_fixed_size 0
		.amdhsa_private_segment_fixed_size 0
		.amdhsa_kernarg_size 88
		.amdhsa_user_sgpr_count 15
		.amdhsa_user_sgpr_dispatch_ptr 0
		.amdhsa_user_sgpr_queue_ptr 0
		.amdhsa_user_sgpr_kernarg_segment_ptr 1
		.amdhsa_user_sgpr_dispatch_id 0
		.amdhsa_user_sgpr_private_segment_size 0
		.amdhsa_wavefront_size32 1
		.amdhsa_uses_dynamic_stack 0
		.amdhsa_enable_private_segment 0
		.amdhsa_system_sgpr_workgroup_id_x 1
		.amdhsa_system_sgpr_workgroup_id_y 0
		.amdhsa_system_sgpr_workgroup_id_z 0
		.amdhsa_system_sgpr_workgroup_info 0
		.amdhsa_system_vgpr_workitem_id 0
		.amdhsa_next_free_vgpr 148
		.amdhsa_next_free_sgpr 21
		.amdhsa_reserve_vcc 1
		.amdhsa_float_round_mode_32 0
		.amdhsa_float_round_mode_16_64 0
		.amdhsa_float_denorm_mode_32 3
		.amdhsa_float_denorm_mode_16_64 3
		.amdhsa_dx10_clamp 1
		.amdhsa_ieee_mode 1
		.amdhsa_fp16_overflow 0
		.amdhsa_workgroup_processor_mode 1
		.amdhsa_memory_ordered 1
		.amdhsa_forward_progress 0
		.amdhsa_shared_vgpr_count 0
		.amdhsa_exception_fp_ieee_invalid_op 0
		.amdhsa_exception_fp_denorm_src 0
		.amdhsa_exception_fp_ieee_div_zero 0
		.amdhsa_exception_fp_ieee_overflow 0
		.amdhsa_exception_fp_ieee_underflow 0
		.amdhsa_exception_fp_ieee_inexact 0
		.amdhsa_exception_int_div_zero 0
	.end_amdhsa_kernel
	.text
.Lfunc_end0:
	.size	fft_rtc_back_len924_factors_2_2_3_7_11_wgs_44_tpt_44_halfLds_sp_ip_CI_unitstride_sbrr_dirReg, .Lfunc_end0-fft_rtc_back_len924_factors_2_2_3_7_11_wgs_44_tpt_44_halfLds_sp_ip_CI_unitstride_sbrr_dirReg
                                        ; -- End function
	.section	.AMDGPU.csdata,"",@progbits
; Kernel info:
; codeLenInByte = 12748
; NumSgprs: 23
; NumVgprs: 148
; ScratchSize: 0
; MemoryBound: 0
; FloatMode: 240
; IeeeMode: 1
; LDSByteSize: 0 bytes/workgroup (compile time only)
; SGPRBlocks: 2
; VGPRBlocks: 18
; NumSGPRsForWavesPerEU: 23
; NumVGPRsForWavesPerEU: 148
; Occupancy: 9
; WaveLimiterHint : 1
; COMPUTE_PGM_RSRC2:SCRATCH_EN: 0
; COMPUTE_PGM_RSRC2:USER_SGPR: 15
; COMPUTE_PGM_RSRC2:TRAP_HANDLER: 0
; COMPUTE_PGM_RSRC2:TGID_X_EN: 1
; COMPUTE_PGM_RSRC2:TGID_Y_EN: 0
; COMPUTE_PGM_RSRC2:TGID_Z_EN: 0
; COMPUTE_PGM_RSRC2:TIDIG_COMP_CNT: 0
	.text
	.p2alignl 7, 3214868480
	.fill 96, 4, 3214868480
	.type	__hip_cuid_cd446b48dcd9ac91,@object ; @__hip_cuid_cd446b48dcd9ac91
	.section	.bss,"aw",@nobits
	.globl	__hip_cuid_cd446b48dcd9ac91
__hip_cuid_cd446b48dcd9ac91:
	.byte	0                               ; 0x0
	.size	__hip_cuid_cd446b48dcd9ac91, 1

	.ident	"AMD clang version 19.0.0git (https://github.com/RadeonOpenCompute/llvm-project roc-6.4.0 25133 c7fe45cf4b819c5991fe208aaa96edf142730f1d)"
	.section	".note.GNU-stack","",@progbits
	.addrsig
	.addrsig_sym __hip_cuid_cd446b48dcd9ac91
	.amdgpu_metadata
---
amdhsa.kernels:
  - .args:
      - .actual_access:  read_only
        .address_space:  global
        .offset:         0
        .size:           8
        .value_kind:     global_buffer
      - .offset:         8
        .size:           8
        .value_kind:     by_value
      - .actual_access:  read_only
        .address_space:  global
        .offset:         16
        .size:           8
        .value_kind:     global_buffer
      - .actual_access:  read_only
        .address_space:  global
        .offset:         24
        .size:           8
        .value_kind:     global_buffer
      - .offset:         32
        .size:           8
        .value_kind:     by_value
      - .actual_access:  read_only
        .address_space:  global
        .offset:         40
        .size:           8
        .value_kind:     global_buffer
      - .actual_access:  read_only
        .address_space:  global
        .offset:         48
        .size:           8
        .value_kind:     global_buffer
      - .offset:         56
        .size:           4
        .value_kind:     by_value
      - .actual_access:  read_only
        .address_space:  global
        .offset:         64
        .size:           8
        .value_kind:     global_buffer
      - .actual_access:  read_only
        .address_space:  global
        .offset:         72
        .size:           8
        .value_kind:     global_buffer
      - .address_space:  global
        .offset:         80
        .size:           8
        .value_kind:     global_buffer
    .group_segment_fixed_size: 0
    .kernarg_segment_align: 8
    .kernarg_segment_size: 88
    .language:       OpenCL C
    .language_version:
      - 2
      - 0
    .max_flat_workgroup_size: 44
    .name:           fft_rtc_back_len924_factors_2_2_3_7_11_wgs_44_tpt_44_halfLds_sp_ip_CI_unitstride_sbrr_dirReg
    .private_segment_fixed_size: 0
    .sgpr_count:     23
    .sgpr_spill_count: 0
    .symbol:         fft_rtc_back_len924_factors_2_2_3_7_11_wgs_44_tpt_44_halfLds_sp_ip_CI_unitstride_sbrr_dirReg.kd
    .uniform_work_group_size: 1
    .uses_dynamic_stack: false
    .vgpr_count:     148
    .vgpr_spill_count: 0
    .wavefront_size: 32
    .workgroup_processor_mode: 1
amdhsa.target:   amdgcn-amd-amdhsa--gfx1100
amdhsa.version:
  - 1
  - 2
...

	.end_amdgpu_metadata
